;; amdgpu-corpus repo=ROCm/rocFFT kind=compiled arch=gfx950 opt=O3
	.text
	.amdgcn_target "amdgcn-amd-amdhsa--gfx950"
	.amdhsa_code_object_version 6
	.protected	bluestein_single_fwd_len2002_dim1_sp_op_CI_CI ; -- Begin function bluestein_single_fwd_len2002_dim1_sp_op_CI_CI
	.globl	bluestein_single_fwd_len2002_dim1_sp_op_CI_CI
	.p2align	8
	.type	bluestein_single_fwd_len2002_dim1_sp_op_CI_CI,@function
bluestein_single_fwd_len2002_dim1_sp_op_CI_CI: ; @bluestein_single_fwd_len2002_dim1_sp_op_CI_CI
; %bb.0:
	s_load_dwordx4 s[8:11], s[0:1], 0x28
	v_mul_u32_u24_e32 v1, 0x169, v0
	v_mov_b32_e32 v101, 0
	v_add_u32_sdwa v6, s2, v1 dst_sel:DWORD dst_unused:UNUSED_PAD src0_sel:DWORD src1_sel:WORD_1
	v_mov_b32_e32 v7, v101
	s_waitcnt lgkmcnt(0)
	v_cmp_gt_u64_e32 vcc, s[8:9], v[6:7]
	s_and_saveexec_b64 s[2:3], vcc
	s_cbranch_execz .LBB0_33
; %bb.1:
	s_load_dwordx4 s[4:7], s[0:1], 0x18
	s_load_dwordx2 s[16:17], s[0:1], 0x0
	v_mov_b32_e32 v2, s10
	v_mov_b32_e32 v3, s11
	s_movk_i32 s2, 0xb6
	s_waitcnt lgkmcnt(0)
	s_load_dwordx4 s[8:11], s[4:5], 0x0
	v_mul_lo_u16_sdwa v1, v1, s2 dst_sel:DWORD dst_unused:UNUSED_PAD src0_sel:WORD_1 src1_sel:DWORD
	v_sub_u16_e32 v100, v0, v1
	v_accvgpr_write_b32 a14, v6
	v_lshlrev_b32_e32 v92, 3, v100
	s_waitcnt lgkmcnt(0)
	v_mad_u64_u32 v[0:1], s[2:3], s10, v6, 0
	v_mov_b32_e32 v4, v1
	v_mad_u64_u32 v[4:5], s[2:3], s11, v6, v[4:5]
	v_mov_b32_e32 v1, v4
	v_mad_u64_u32 v[4:5], s[2:3], s8, v100, 0
	v_mov_b32_e32 v6, v5
	v_mad_u64_u32 v[6:7], s[2:3], s9, v100, v[6:7]
	s_mul_i32 s2, s9, 0x3e9
	s_mul_hi_u32 s3, s8, 0x3e9
	v_mov_b32_e32 v5, v6
	v_lshl_add_u64 v[0:1], v[0:1], 3, v[2:3]
	v_mov_b32_e32 v93, v101
	s_add_i32 s3, s3, s2
	s_mul_i32 s2, s8, 0x3e9
	v_lshl_add_u64 v[0:1], v[4:5], 3, v[0:1]
	v_lshl_add_u64 v[22:23], s[16:17], 0, v[92:93]
	s_lshl_b64 s[10:11], s[2:3], 3
	s_movk_i32 s4, 0x1000
	s_mul_hi_u32 s5, s8, 0xfffffccd
	v_lshl_add_u64 v[2:3], v[0:1], 0, s[10:11]
	global_load_dwordx2 v[4:5], v[0:1], off
	global_load_dwordx2 v[6:7], v[2:3], off
	v_add_co_u32_e32 v0, vcc, s4, v22
	s_mul_i32 s4, s9, 0xfffffccd
	s_sub_i32 s5, s5, s8
	s_add_i32 s5, s5, s4
	s_mul_i32 s4, s8, 0xfffffccd
	s_lshl_b64 s[8:9], s[4:5], 3
	v_addc_co_u32_e32 v1, vcc, 0, v23, vcc
	v_lshl_add_u64 v[2:3], v[2:3], 0, s[8:9]
	s_movk_i32 s12, 0x2000
	global_load_dwordx2 v[40:41], v[0:1], off offset:3912
	global_load_dwordx2 v[38:39], v92, s[16:17] offset:1456
	global_load_dwordx2 v[42:43], v92, s[16:17]
	v_lshl_add_u64 v[8:9], v[2:3], 0, s[10:11]
	global_load_dwordx2 v[10:11], v[2:3], off
	global_load_dwordx2 v[12:13], v[8:9], off
	v_add_co_u32_e32 v2, vcc, s12, v22
	v_lshl_add_u64 v[8:9], v[8:9], 0, s[8:9]
	s_nop 0
	v_addc_co_u32_e32 v3, vcc, 0, v23, vcc
	global_load_dwordx2 v[36:37], v[2:3], off offset:1272
	global_load_dwordx2 v[14:15], v[8:9], off
	global_load_dwordx2 v[34:35], v92, s[16:17] offset:2912
	v_lshl_add_u64 v[8:9], v[8:9], 0, s[10:11]
	global_load_dwordx2 v[16:17], v[8:9], off
	global_load_dwordx2 v[30:31], v[2:3], off offset:2728
	v_lshl_add_u64 v[2:3], v[8:9], 0, s[8:9]
	s_movk_i32 s12, 0x3000
	global_load_dwordx2 v[8:9], v[2:3], off
	global_load_dwordx2 v[28:29], v[0:1], off offset:272
	v_lshl_add_u64 v[2:3], v[2:3], 0, s[10:11]
	v_add_co_u32_e32 v20, vcc, s12, v22
	global_load_dwordx2 v[18:19], v[2:3], off
	v_accvgpr_write_b32 a0, v22
	v_addc_co_u32_e32 v21, vcc, 0, v23, vcc
	v_lshl_add_u64 v[2:3], v[2:3], 0, s[8:9]
	v_accvgpr_write_b32 a1, v23
	global_load_dwordx2 v[32:33], v[20:21], off offset:88
	global_load_dwordx2 v[22:23], v[2:3], off
	global_load_dwordx2 v[26:27], v[0:1], off offset:1728
	v_lshl_add_u64 v[0:1], v[2:3], 0, s[10:11]
	global_load_dwordx2 v[24:25], v[20:21], off offset:1544
	global_load_dwordx2 v[2:3], v[0:1], off
	s_load_dwordx2 s[10:11], s[0:1], 0x38
	s_load_dwordx4 s[12:15], s[6:7], 0x0
	s_movk_i32 s6, 0x5b
	v_cmp_gt_u16_e64 s[8:9], s6, v100
	s_waitcnt vmcnt(17)
	v_accvgpr_write_b32 a22, v40
	s_waitcnt vmcnt(16)
	v_accvgpr_write_b32 a20, v38
	s_waitcnt vmcnt(15)
	v_mul_f32_e32 v20, v5, v43
	v_mul_f32_e32 v21, v4, v43
	v_fmac_f32_e32 v20, v4, v42
	v_fma_f32 v21, v5, v42, -v21
	v_mul_f32_e32 v4, v7, v41
	v_mul_f32_e32 v5, v6, v41
	v_fmac_f32_e32 v4, v6, v40
	v_fma_f32 v5, v7, v40, -v5
	s_waitcnt vmcnt(14)
	v_mul_f32_e32 v6, v11, v39
	v_mul_f32_e32 v7, v10, v39
	ds_write_b64 v92, v[4:5] offset:8008
	v_fmac_f32_e32 v6, v10, v38
	v_fma_f32 v7, v11, v38, -v7
	s_waitcnt vmcnt(12)
	v_mul_f32_e32 v4, v13, v37
	v_mul_f32_e32 v5, v12, v37
	s_waitcnt vmcnt(8)
	v_mul_f32_e32 v10, v17, v31
	v_mul_f32_e32 v11, v16, v31
	v_fmac_f32_e32 v4, v12, v36
	v_fma_f32 v5, v13, v36, -v5
	v_fmac_f32_e32 v10, v16, v30
	v_fma_f32 v11, v17, v30, -v11
	v_add_u32_e32 v12, 0x2400, v92
	ds_write2_b64 v92, v[20:21], v[6:7] offset1:182
	v_mul_f32_e32 v6, v15, v35
	v_mul_f32_e32 v7, v14, v35
	ds_write2_b64 v12, v[4:5], v[10:11] offset0:31 offset1:213
	s_waitcnt vmcnt(6)
	v_mul_f32_e32 v4, v9, v29
	v_mul_f32_e32 v5, v8, v29
	v_fmac_f32_e32 v6, v14, v34
	v_fma_f32 v7, v15, v34, -v7
	v_fmac_f32_e32 v4, v8, v28
	v_fma_f32 v5, v9, v28, -v5
	v_add_u32_e32 v10, 0xa00, v92
	ds_write2_b64 v10, v[6:7], v[4:5] offset0:44 offset1:226
	s_waitcnt vmcnt(2)
	v_mul_f32_e32 v6, v23, v27
	v_mul_f32_e32 v7, v22, v27
	v_fmac_f32_e32 v6, v22, v26
	v_fma_f32 v7, v23, v26, -v7
	ds_write_b64 v92, v[6:7] offset:5824
	s_waitcnt vmcnt(0)
	v_mul_f32_e32 v6, v3, v25
	v_accvgpr_write_b32 a24, v42
	v_accvgpr_write_b32 a18, v36
	;; [unrolled: 1-line block ×5, first 2 shown]
	v_mul_f32_e32 v4, v19, v33
	v_mul_f32_e32 v5, v18, v33
	v_accvgpr_write_b32 a12, v32
	v_accvgpr_write_b32 a4, v26
	v_fmac_f32_e32 v6, v2, v24
	v_mul_f32_e32 v2, v2, v25
	v_accvgpr_write_b32 a2, v24
	v_accvgpr_write_b32 a25, v43
	;; [unrolled: 1-line block ×8, first 2 shown]
	v_fmac_f32_e32 v4, v18, v32
	v_accvgpr_write_b32 a13, v33
	v_fma_f32 v5, v19, v32, -v5
	v_accvgpr_write_b32 a5, v27
	v_accvgpr_write_b32 a3, v25
	v_fma_f32 v7, v3, v24, -v2
	v_add_u32_e32 v2, 0x3000, v92
	ds_write2_b64 v2, v[4:5], v[6:7] offset0:11 offset1:193
	s_and_saveexec_b64 s[6:7], s[8:9]
	s_cbranch_execz .LBB0_3
; %bb.2:
	v_accvgpr_read_b32 v7, a1
	v_accvgpr_read_b32 v6, a0
	v_add_co_u32_e32 v4, vcc, 0x1000, v6
	v_lshl_add_u64 v[0:1], s[4:5], 3, v[0:1]
	s_nop 0
	v_addc_co_u32_e32 v5, vcc, 0, v7, vcc
	v_add_co_u32_e32 v6, vcc, 0x3000, v6
	global_load_dwordx2 v[2:3], v[0:1], off
	v_lshl_add_u64 v[0:1], s[2:3], 3, v[0:1]
	global_load_dwordx2 v[4:5], v[4:5], off offset:3184
	v_addc_co_u32_e32 v7, vcc, 0, v7, vcc
	global_load_dwordx2 v[6:7], v[6:7], off offset:3000
	s_waitcnt vmcnt(1)
	v_mul_f32_e32 v8, v3, v5
	global_load_dwordx2 v[0:1], v[0:1], off
	v_mul_f32_e32 v5, v2, v5
	v_fmac_f32_e32 v8, v2, v4
	v_fma_f32 v9, v3, v4, -v5
	ds_write_b64 v92, v[8:9] offset:7280
	s_waitcnt vmcnt(0)
	v_mul_f32_e32 v2, v1, v7
	v_mul_f32_e32 v3, v0, v7
	v_fmac_f32_e32 v2, v0, v6
	v_fma_f32 v3, v1, v6, -v3
	ds_write_b64 v92, v[2:3] offset:15288
.LBB0_3:
	s_or_b64 exec, exec, s[6:7]
	v_add_u32_e32 v0, 0x1e00, v92
	s_waitcnt lgkmcnt(0)
	s_barrier
	ds_read2_b64 v[6:9], v92 offset1:182
	ds_read2_b64 v[2:5], v0 offset0:41 offset1:223
	ds_read2_b64 v[14:17], v10 offset0:44 offset1:226
	v_add_u32_e32 v0, 0x2a00, v92
	ds_read2_b64 v[10:13], v0 offset0:21 offset1:203
	ds_read_b64 v[22:23], v92 offset:5824
	ds_read_b64 v[18:19], v92 offset:13832
                                        ; implicit-def: $vgpr20
                                        ; implicit-def: $vgpr26
	s_and_saveexec_b64 s[2:3], s[8:9]
	s_cbranch_execz .LBB0_5
; %bb.4:
	ds_read_b64 v[20:21], v92 offset:7280
	ds_read_b64 v[26:27], v92 offset:15288
.LBB0_5:
	s_or_b64 exec, exec, s[2:3]
	s_load_dwordx2 s[0:1], s[0:1], 0x8
	s_waitcnt lgkmcnt(0)
	v_pk_add_f32 v[2:3], v[6:7], v[2:3] neg_lo:[0,1] neg_hi:[0,1]
	s_mov_b64 s[2:3], 0xb6
	v_pk_fma_f32 v[0:1], v[6:7], 2.0, v[2:3] op_sel_hi:[1,0,1] neg_lo:[0,0,1] neg_hi:[0,0,1]
	v_pk_add_f32 v[6:7], v[8:9], v[4:5] neg_lo:[0,1] neg_hi:[0,1]
	v_pk_add_f32 v[10:11], v[14:15], v[10:11] neg_lo:[0,1] neg_hi:[0,1]
	v_lshl_add_u64 v[24:25], v[100:101], 0, s[2:3]
	s_mov_b64 s[2:3], 0x38e
	v_pk_fma_f32 v[4:5], v[8:9], 2.0, v[6:7] op_sel_hi:[1,0,1] neg_lo:[0,0,1] neg_hi:[0,0,1]
	v_pk_fma_f32 v[8:9], v[14:15], 2.0, v[10:11] op_sel_hi:[1,0,1] neg_lo:[0,0,1] neg_hi:[0,0,1]
	v_pk_add_f32 v[14:15], v[16:17], v[12:13] neg_lo:[0,1] neg_hi:[0,1]
	v_pk_add_f32 v[18:19], v[22:23], v[18:19] neg_lo:[0,1] neg_hi:[0,1]
	v_lshl_add_u64 v[28:29], v[100:101], 0, s[2:3]
	v_pk_fma_f32 v[12:13], v[16:17], 2.0, v[14:15] op_sel_hi:[1,0,1] neg_lo:[0,0,1] neg_hi:[0,0,1]
	v_pk_fma_f32 v[16:17], v[22:23], 2.0, v[18:19] op_sel_hi:[1,0,1] neg_lo:[0,0,1] neg_hi:[0,0,1]
	v_pk_add_f32 v[22:23], v[20:21], v[26:27] neg_lo:[0,1] neg_hi:[0,1]
	v_lshlrev_b16_e32 v25, 1, v100
	v_lshlrev_b32_e32 v215, 4, v100
	v_pk_fma_f32 v[20:21], v[20:21], 2.0, v[22:23] op_sel_hi:[1,0,1] neg_lo:[0,0,1] neg_hi:[0,0,1]
	v_lshlrev_b32_e32 v213, 3, v25
	v_lshlrev_b32_e32 v214, 4, v24
	v_lshlrev_b32_e32 v212, 4, v28
	s_barrier
	ds_write_b128 v213, v[0:3]
	ds_write_b128 v214, v[4:7]
	ds_write_b128 v215, v[8:11] offset:5824
	ds_write_b128 v215, v[12:15] offset:8736
	;; [unrolled: 1-line block ×3, first 2 shown]
	s_and_saveexec_b64 s[2:3], s[8:9]
	s_cbranch_execz .LBB0_7
; %bb.6:
	ds_write_b128 v212, v[20:23]
.LBB0_7:
	s_or_b64 exec, exec, s[2:3]
	s_movk_i32 s2, 0x9a
	v_cmp_gt_u16_e64 s[2:3], s2, v100
	s_waitcnt lgkmcnt(0)
	s_barrier
	s_waitcnt lgkmcnt(0)
                                        ; implicit-def: $vgpr26
                                        ; implicit-def: $vgpr28
	s_and_saveexec_b64 s[4:5], s[2:3]
	s_cbranch_execz .LBB0_9
; %bb.8:
	v_add_u32_e32 v4, 0x800, v92
	v_add_u32_e32 v8, 0x1200, v92
	;; [unrolled: 1-line block ×5, first 2 shown]
	ds_read2_b64 v[0:3], v92 offset1:154
	ds_read2_b64 v[4:7], v4 offset0:52 offset1:206
	ds_read2_b64 v[8:11], v8 offset0:40 offset1:194
	ds_read2_b64 v[12:15], v12 offset0:28 offset1:182
	ds_read2_b64 v[16:19], v16 offset0:80 offset1:234
	ds_read_b64 v[26:27], v92 offset:14784
	ds_read2_b64 v[20:23], v20 offset0:4 offset1:158
	s_waitcnt lgkmcnt(1)
	v_mov_b32_e32 v28, v27
.LBB0_9:
	s_or_b64 exec, exec, s[4:5]
	v_and_b32_e32 v25, 1, v100
	v_accvgpr_write_b32 a7, v25
	v_mul_u32_u24_e32 v25, 12, v25
	v_lshlrev_b32_e32 v25, 3, v25
	global_load_dwordx4 v[52:55], v25, s[0:1] offset:16
	global_load_dwordx4 v[48:51], v25, s[0:1] offset:32
	;; [unrolled: 1-line block ×4, first 2 shown]
	global_load_dwordx4 v[60:63], v25, s[0:1]
	global_load_dwordx4 v[64:67], v25, s[0:1] offset:80
	s_mov_b32 s20, 0xbf7e222b
	s_mov_b32 s4, 0x3df6dbef
	;; [unrolled: 1-line block ×15, first 2 shown]
	s_waitcnt lgkmcnt(0)
	s_barrier
	s_waitcnt vmcnt(5)
	v_pk_mul_f32 v[30:31], v[8:9], v[54:55] op_sel:[1,0]
	s_waitcnt vmcnt(4)
	v_pk_mul_f32 v[32:33], v[10:11], v[48:49] op_sel:[1,0]
	s_waitcnt vmcnt(3)
	v_pk_mul_f32 v[34:35], v[16:17], v[46:47] op_sel:[1,0]
	s_waitcnt vmcnt(2)
	v_pk_mul_f32 v[38:39], v[18:19], v[56:57] op_sel:[1,0]
	v_pk_mul_f32 v[42:43], v[12:13], v[50:51] op_sel:[1,0]
	v_pk_mul_f32 v[68:69], v[14:15], v[44:45] op_sel:[1,0]
	s_waitcnt vmcnt(1)
	v_pk_mul_f32 v[70:71], v[4:5], v[62:63] op_sel:[1,0]
	v_pk_mul_f32 v[72:73], v[6:7], v[52:53] op_sel:[1,0]
	;; [unrolled: 1-line block ×3, first 2 shown]
	s_waitcnt vmcnt(0)
	v_pk_mul_f32 v[76:77], v[22:23], v[64:65] op_sel:[1,0]
	v_pk_mul_f32 v[28:29], v[28:29], v[66:67] op_sel_hi:[0,1]
	v_pk_mul_f32 v[78:79], v[2:3], v[60:61] op_sel:[1,1] op_sel_hi:[1,0]
	v_pk_fma_f32 v[36:37], v[8:9], v[54:55], v[30:31] op_sel:[0,0,1] op_sel_hi:[1,1,0] neg_lo:[0,0,1] neg_hi:[0,0,1]
	v_pk_fma_f32 v[8:9], v[8:9], v[54:55], v[30:31] op_sel:[0,0,1] op_sel_hi:[0,1,0]
	v_pk_fma_f32 v[40:41], v[10:11], v[48:49], v[32:33] op_sel:[0,0,1] op_sel_hi:[1,1,0] neg_lo:[0,0,1] neg_hi:[0,0,1]
	v_pk_fma_f32 v[30:31], v[10:11], v[48:49], v[32:33] op_sel:[0,0,1] op_sel_hi:[0,1,0]
	;; [unrolled: 2-line block ×4, first 2 shown]
	v_pk_fma_f32 v[38:39], v[12:13], v[50:51], v[42:43] op_sel:[0,0,1] op_sel_hi:[0,1,0]
	v_pk_fma_f32 v[12:13], v[12:13], v[50:51], v[42:43] op_sel:[0,0,1] op_sel_hi:[0,1,0] neg_lo:[0,0,1] neg_hi:[0,0,1]
	v_pk_fma_f32 v[80:81], v[14:15], v[44:45], v[68:69] op_sel:[0,0,1] op_sel_hi:[0,1,0]
	v_pk_fma_f32 v[14:15], v[14:15], v[44:45], v[68:69] op_sel:[0,0,1] op_sel_hi:[0,1,0] neg_lo:[0,0,1] neg_hi:[0,0,1]
	v_pk_fma_f32 v[42:43], v[4:5], v[62:63], v[70:71] op_sel:[0,0,1] op_sel_hi:[1,1,0] neg_lo:[0,0,1] neg_hi:[0,0,1]
	v_pk_fma_f32 v[4:5], v[4:5], v[62:63], v[70:71] op_sel:[0,0,1] op_sel_hi:[0,1,0]
	v_pk_fma_f32 v[68:69], v[6:7], v[52:53], v[72:73] op_sel:[0,0,1] op_sel_hi:[1,1,0] neg_lo:[0,0,1] neg_hi:[0,0,1]
	v_pk_fma_f32 v[6:7], v[6:7], v[52:53], v[72:73] op_sel:[0,0,1] op_sel_hi:[0,1,0]
	;; [unrolled: 2-line block ×5, first 2 shown]
	v_pk_fma_f32 v[82:83], v[2:3], v[60:61], v[78:79] neg_lo:[0,0,1] neg_hi:[0,0,1]
	v_pk_fma_f32 v[2:3], v[2:3], v[60:61], v[78:79] op_sel_hi:[0,1,1]
	v_mov_b32_e32 v83, v3
	v_mov_b32_e32 v23, v27
	;; [unrolled: 1-line block ×5, first 2 shown]
	v_pk_add_f32 v[38:39], v[82:83], v[22:23] neg_lo:[0,1] neg_hi:[0,1]
	v_mov_b32_e32 v17, v35
	v_mov_b32_e32 v69, v7
	;; [unrolled: 1-line block ×3, first 2 shown]
	v_pk_add_f32 v[34:35], v[82:83], v[22:23]
	v_pk_add_f32 v[196:197], v[42:43], v[20:21] neg_lo:[0,1] neg_hi:[0,1]
	v_pk_mul_f32 v[2:3], v[38:39], s[20:21] op_sel:[1,0] op_sel_hi:[0,0]
	v_mov_b32_e32 v15, v81
	v_pk_add_f32 v[194:195], v[42:43], v[20:21]
	v_pk_add_f32 v[204:205], v[68:69], v[18:19] neg_lo:[0,1] neg_hi:[0,1]
	v_pk_mul_f32 v[4:5], v[196:197], s[22:23] op_sel:[1,0] op_sel_hi:[0,0]
	v_pk_fma_f32 v[78:79], v[34:35], s[4:5], v[2:3] op_sel_hi:[1,0,1]
	v_pk_fma_f32 v[80:81], v[34:35], s[4:5], v[2:3] op_sel_hi:[1,0,1] neg_lo:[0,0,1] neg_hi:[0,0,1]
	v_pk_add_f32 v[200:201], v[68:69], v[18:19]
	v_pk_mul_f32 v[6:7], v[204:205], s[28:29] op_sel:[1,0] op_sel_hi:[0,0]
	v_pk_fma_f32 v[74:75], v[194:195], s[18:19], v[4:5] op_sel_hi:[1,0,1]
	v_pk_fma_f32 v[76:77], v[194:195], s[18:19], v[4:5] op_sel_hi:[1,0,1] neg_lo:[0,0,1] neg_hi:[0,0,1]
	v_mov_b32_e32 v4, v78
	v_mov_b32_e32 v5, v81
	;; [unrolled: 1-line block ×3, first 2 shown]
	v_pk_mul_f32 v[8:9], v[38:39], s[22:23] op_sel:[1,0] op_sel_hi:[0,0]
	v_pk_fma_f32 v[70:71], v[200:201], s[6:7], v[6:7] op_sel_hi:[1,0,1]
	v_pk_fma_f32 v[72:73], v[200:201], s[6:7], v[6:7] op_sel_hi:[1,0,1] neg_lo:[0,0,1] neg_hi:[0,0,1]
	v_mov_b32_e32 v6, v74
	v_mov_b32_e32 v7, v77
	v_pk_add_f32 v[4:5], v[0:1], v[4:5]
	v_pk_mul_f32 v[26:27], v[196:197], s[26:27] op_sel:[1,0] op_sel_hi:[0,0]
	v_pk_fma_f32 v[102:103], v[34:35], s[18:19], v[8:9] op_sel_hi:[1,0,1]
	v_pk_fma_f32 v[2:3], v[34:35], s[18:19], v[8:9] op_sel_hi:[1,0,1] neg_lo:[0,0,1] neg_hi:[0,0,1]
	v_mov_b32_e32 v8, v70
	v_mov_b32_e32 v9, v73
	v_pk_add_f32 v[4:5], v[6:7], v[4:5]
	v_pk_fma_f32 v[106:107], v[194:195], s[24:25], v[26:27] op_sel_hi:[1,0,1]
	v_pk_add_f32 v[28:29], v[8:9], v[4:5]
	v_pk_fma_f32 v[4:5], v[194:195], s[24:25], v[26:27] op_sel_hi:[1,0,1] neg_lo:[0,0,1] neg_hi:[0,0,1]
	v_mov_b32_e32 v6, v102
	v_mov_b32_e32 v7, v3
	v_pk_add_f32 v[6:7], v[0:1], v[6:7]
	v_mov_b32_e32 v8, v106
	v_mov_b32_e32 v9, v5
	v_pk_add_f32 v[26:27], v[8:9], v[6:7]
	v_pk_mul_f32 v[8:9], v[204:205], s[36:37] op_sel:[1,0] op_sel_hi:[0,0]
	v_pk_fma_f32 v[6:7], v[200:201], s[34:35], v[8:9] op_sel_hi:[1,0,1] neg_lo:[0,0,1] neg_hi:[0,0,1]
	v_pk_fma_f32 v[8:9], v[200:201], s[34:35], v[8:9] op_sel_hi:[1,0,1]
	v_mov_b32_e32 v41, v31
	v_mov_b32_e32 v30, v8
	;; [unrolled: 1-line block ×3, first 2 shown]
	v_pk_add_f32 v[26:27], v[30:31], v[26:27]
	v_pk_mul_f32 v[30:31], v[38:39], s[38:39] op_sel:[1,0] op_sel_hi:[0,0]
	v_mov_b32_e32 v11, v33
	s_mov_b32 s28, 0x3f116cb1
	v_pk_fma_f32 v[114:115], v[34:35], s[24:25], v[30:31] op_sel_hi:[1,0,1]
	v_pk_fma_f32 v[88:89], v[34:35], s[24:25], v[30:31] op_sel_hi:[1,0,1] neg_lo:[0,0,1] neg_hi:[0,0,1]
	v_pk_mul_f32 v[32:33], v[196:197], s[30:31] op_sel:[1,0] op_sel_hi:[0,0]
	v_mov_b32_e32 v30, v114
	v_mov_b32_e32 v31, v89
	v_pk_fma_f32 v[116:117], v[194:195], s[28:29], v[32:33] op_sel_hi:[1,0,1]
	v_pk_fma_f32 v[98:99], v[194:195], s[28:29], v[32:33] op_sel_hi:[1,0,1] neg_lo:[0,0,1] neg_hi:[0,0,1]
	v_pk_add_f32 v[30:31], v[0:1], v[30:31]
	v_mov_b32_e32 v32, v116
	v_mov_b32_e32 v33, v99
	v_pk_add_f32 v[30:31], v[32:33], v[30:31]
	v_pk_mul_f32 v[32:33], v[204:205], s[20:21] op_sel:[1,0] op_sel_hi:[0,0]
	v_pk_fma_f32 v[118:119], v[200:201], s[4:5], v[32:33] op_sel_hi:[1,0,1]
	v_pk_fma_f32 v[104:105], v[200:201], s[4:5], v[32:33] op_sel_hi:[1,0,1] neg_lo:[0,0,1] neg_hi:[0,0,1]
	v_mov_b32_e32 v32, v118
	v_mov_b32_e32 v33, v105
	s_mov_b32 s38, 0xbf6f5d39
	v_pk_add_f32 v[170:171], v[36:37], v[16:17] neg_lo:[0,1] neg_hi:[0,1]
	v_pk_add_f32 v[30:31], v[32:33], v[30:31]
	v_pk_add_f32 v[172:173], v[36:37], v[16:17]
	v_pk_mul_f32 v[32:33], v[170:171], s[38:39] op_sel:[1,0] op_sel_hi:[0,0]
	v_pk_fma_f32 v[122:123], v[172:173], s[6:7], v[32:33] op_sel_hi:[1,0,1]
	v_pk_fma_f32 v[112:113], v[172:173], s[6:7], v[32:33] op_sel_hi:[1,0,1] neg_lo:[0,0,1] neg_hi:[0,0,1]
	v_mov_b32_e32 v32, v122
	v_mov_b32_e32 v33, v113
	v_pk_add_f32 v[30:31], v[32:33], v[30:31]
	v_pk_mul_f32 v[32:33], v[170:171], s[26:27] op_sel:[1,0] op_sel_hi:[0,0]
	v_pk_fma_f32 v[90:91], v[172:173], s[24:25], v[32:33] op_sel_hi:[1,0,1]
	v_pk_fma_f32 v[96:97], v[172:173], s[24:25], v[32:33] op_sel_hi:[1,0,1] neg_lo:[0,0,1] neg_hi:[0,0,1]
	v_mov_b32_e32 v32, v90
	v_mov_b32_e32 v33, v97
	v_pk_add_f32 v[28:29], v[32:33], v[28:29]
	v_pk_mul_f32 v[32:33], v[170:171], s[42:43] op_sel:[1,0] op_sel_hi:[0,0]
	v_pk_fma_f32 v[84:85], v[172:173], s[28:29], v[32:33] op_sel_hi:[1,0,1] neg_lo:[0,0,1] neg_hi:[0,0,1]
	v_pk_fma_f32 v[86:87], v[172:173], s[28:29], v[32:33] op_sel_hi:[1,0,1]
	v_mov_b32_e32 v33, v85
	v_mov_b32_e32 v32, v86
	v_pk_add_f32 v[174:175], v[40:41], v[10:11] neg_lo:[0,1] neg_hi:[0,1]
	v_pk_add_f32 v[26:27], v[32:33], v[26:27]
	v_pk_add_f32 v[176:177], v[40:41], v[10:11]
	v_pk_mul_f32 v[32:33], v[174:175], s[36:37] op_sel:[1,0] op_sel_hi:[0,0]
	v_pk_fma_f32 v[128:129], v[176:177], s[34:35], v[32:33] op_sel_hi:[1,0,1]
	v_pk_fma_f32 v[120:121], v[176:177], s[34:35], v[32:33] op_sel_hi:[1,0,1] neg_lo:[0,0,1] neg_hi:[0,0,1]
	v_mov_b32_e32 v32, v128
	v_mov_b32_e32 v33, v121
	v_pk_add_f32 v[30:31], v[32:33], v[30:31]
	v_pk_mul_f32 v[32:33], v[38:39], s[30:31] op_sel:[1,0] op_sel_hi:[0,0]
	v_pk_fma_f32 v[108:109], v[34:35], s[28:29], v[32:33] op_sel_hi:[1,0,1]
	v_pk_fma_f32 v[124:125], v[34:35], s[28:29], v[32:33] op_sel_hi:[1,0,1] neg_lo:[0,0,1] neg_hi:[0,0,1]
	v_pk_mul_f32 v[94:95], v[196:197], s[38:39] op_sel:[1,0] op_sel_hi:[0,0]
	v_mov_b32_e32 v32, v108
	v_mov_b32_e32 v33, v125
	v_pk_fma_f32 v[146:147], v[194:195], s[6:7], v[94:95] op_sel_hi:[1,0,1]
	v_pk_fma_f32 v[126:127], v[194:195], s[6:7], v[94:95] op_sel_hi:[1,0,1] neg_lo:[0,0,1] neg_hi:[0,0,1]
	v_pk_add_f32 v[32:33], v[0:1], v[32:33]
	v_mov_b32_e32 v94, v146
	v_mov_b32_e32 v95, v127
	v_pk_add_f32 v[32:33], v[94:95], v[32:33]
	v_pk_mul_f32 v[94:95], v[204:205], s[22:23] op_sel:[1,0] op_sel_hi:[0,0]
	v_pk_fma_f32 v[154:155], v[200:201], s[18:19], v[94:95] op_sel_hi:[1,0,1]
	v_pk_fma_f32 v[130:131], v[200:201], s[18:19], v[94:95] op_sel_hi:[1,0,1] neg_lo:[0,0,1] neg_hi:[0,0,1]
	v_mov_b32_e32 v94, v154
	v_mov_b32_e32 v95, v131
	v_pk_add_f32 v[32:33], v[94:95], v[32:33]
	v_pk_mul_f32 v[94:95], v[170:171], s[44:45] op_sel:[1,0] op_sel_hi:[0,0]
	v_pk_fma_f32 v[164:165], v[172:173], s[34:35], v[94:95] op_sel_hi:[1,0,1]
	v_pk_fma_f32 v[136:137], v[172:173], s[34:35], v[94:95] op_sel_hi:[1,0,1] neg_lo:[0,0,1] neg_hi:[0,0,1]
	;; [unrolled: 6-line block ×4, first 2 shown]
	v_mov_b32_e32 v94, v132
	v_mov_b32_e32 v95, v135
	v_pk_add_f32 v[150:151], v[94:95], v[28:29]
	v_pk_mul_f32 v[28:29], v[174:175], s[38:39] op_sel:[1,0] op_sel_hi:[0,0]
	v_pk_fma_f32 v[94:95], v[176:177], s[6:7], v[28:29] op_sel_hi:[1,0,1] neg_lo:[0,0,1] neg_hi:[0,0,1]
	v_pk_fma_f32 v[110:111], v[176:177], s[6:7], v[28:29] op_sel_hi:[1,0,1]
	v_mov_b32_e32 v29, v95
	v_mov_b32_e32 v28, v110
	v_pk_add_f32 v[220:221], v[12:13], v[14:15] neg_lo:[0,1] neg_hi:[0,1]
	v_pk_add_f32 v[216:217], v[28:29], v[26:27]
	v_pk_add_f32 v[218:219], v[12:13], v[14:15]
	v_pk_mul_f32 v[26:27], v[220:221], s[22:23] op_sel:[1,0] op_sel_hi:[0,0]
	v_pk_fma_f32 v[188:189], v[218:219], s[18:19], v[26:27] op_sel_hi:[1,0,1]
	v_pk_fma_f32 v[148:149], v[218:219], s[18:19], v[26:27] op_sel_hi:[1,0,1] neg_lo:[0,0,1] neg_hi:[0,0,1]
	v_mov_b32_e32 v26, v188
	v_mov_b32_e32 v27, v149
	v_pk_add_f32 v[28:29], v[26:27], v[30:31]
	v_pk_mul_f32 v[26:27], v[220:221], s[26:27] op_sel:[1,0] op_sel_hi:[0,0]
	v_pk_fma_f32 v[202:203], v[218:219], s[24:25], v[26:27] op_sel_hi:[1,0,1]
	v_pk_fma_f32 v[144:145], v[218:219], s[24:25], v[26:27] op_sel_hi:[1,0,1] neg_lo:[0,0,1] neg_hi:[0,0,1]
	v_pk_mul_f32 v[30:31], v[220:221], s[36:37] op_sel:[1,0] op_sel_hi:[0,0]
	v_mov_b32_e32 v26, v202
	v_mov_b32_e32 v27, v145
	v_pk_fma_f32 v[140:141], v[218:219], s[34:35], v[30:31] op_sel_hi:[1,0,1]
	v_pk_fma_f32 v[142:143], v[218:219], s[34:35], v[30:31] op_sel_hi:[1,0,1] neg_lo:[0,0,1] neg_hi:[0,0,1]
	v_pk_add_f32 v[26:27], v[26:27], v[32:33]
	v_mov_b32_e32 v30, v140
	v_mov_b32_e32 v31, v143
	v_pk_mul_f32 v[32:33], v[38:39], s[38:39] op_sel:[1,0] op_sel_hi:[0,0]
	v_pk_add_f32 v[30:31], v[30:31], v[150:151]
	v_pk_fma_f32 v[150:151], v[34:35], s[6:7], v[32:33] op_sel_hi:[1,0,1]
	v_pk_fma_f32 v[152:153], v[34:35], s[6:7], v[32:33] op_sel_hi:[1,0,1] neg_lo:[0,0,1] neg_hi:[0,0,1]
	v_pk_mul_f32 v[158:159], v[196:197], s[44:45] op_sel:[1,0] op_sel_hi:[0,0]
	v_mov_b32_e32 v32, v150
	v_mov_b32_e32 v33, v153
	v_pk_fma_f32 v[156:157], v[194:195], s[34:35], v[158:159] op_sel_hi:[1,0,1]
	v_pk_fma_f32 v[158:159], v[194:195], s[34:35], v[158:159] op_sel_hi:[1,0,1] neg_lo:[0,0,1] neg_hi:[0,0,1]
	v_pk_add_f32 v[32:33], v[0:1], v[32:33]
	v_mov_b32_e32 v160, v156
	v_mov_b32_e32 v161, v159
	v_pk_mul_f32 v[162:163], v[204:205], s[26:27] op_sel:[1,0] op_sel_hi:[0,0]
	v_pk_add_f32 v[32:33], v[160:161], v[32:33]
	v_pk_fma_f32 v[160:161], v[200:201], s[24:25], v[162:163] op_sel_hi:[1,0,1]
	v_pk_fma_f32 v[162:163], v[200:201], s[24:25], v[162:163] op_sel_hi:[1,0,1] neg_lo:[0,0,1] neg_hi:[0,0,1]
	v_mov_b32_e32 v166, v160
	v_mov_b32_e32 v167, v163
	v_pk_mul_f32 v[168:169], v[170:171], s[20:21] op_sel:[1,0] op_sel_hi:[0,0]
	v_pk_add_f32 v[32:33], v[166:167], v[32:33]
	v_pk_fma_f32 v[166:167], v[172:173], s[4:5], v[168:169] op_sel_hi:[1,0,1]
	v_pk_fma_f32 v[168:169], v[172:173], s[4:5], v[168:169] op_sel_hi:[1,0,1] neg_lo:[0,0,1] neg_hi:[0,0,1]
	s_mov_b32 s20, 0x3e750f2a
	v_mov_b32_e32 v180, v166
	v_mov_b32_e32 v181, v169
	v_pk_mul_f32 v[182:183], v[174:175], s[20:21] op_sel:[1,0] op_sel_hi:[0,0]
	v_pk_add_f32 v[32:33], v[180:181], v[32:33]
	v_pk_fma_f32 v[180:181], v[176:177], s[18:19], v[182:183] op_sel_hi:[1,0,1]
	v_pk_fma_f32 v[182:183], v[176:177], s[18:19], v[182:183] op_sel_hi:[1,0,1] neg_lo:[0,0,1] neg_hi:[0,0,1]
	v_mov_b32_e32 v184, v180
	v_mov_b32_e32 v185, v183
	v_pk_mul_f32 v[186:187], v[220:221], s[42:43] op_sel:[1,0] op_sel_hi:[0,0]
	v_pk_add_f32 v[32:33], v[184:185], v[32:33]
	v_pk_fma_f32 v[184:185], v[218:219], s[28:29], v[186:187] op_sel_hi:[1,0,1]
	v_pk_fma_f32 v[186:187], v[218:219], s[28:29], v[186:187] op_sel_hi:[1,0,1] neg_lo:[0,0,1] neg_hi:[0,0,1]
	v_mov_b32_e32 v190, v184
	v_mov_b32_e32 v191, v187
	v_pk_add_f32 v[32:33], v[190:191], v[32:33]
	v_pk_mul_f32 v[190:191], v[170:171], s[20:21] op_sel:[1,0] op_sel_hi:[0,0]
	v_pk_fma_f32 v[170:171], v[172:173], s[18:19], v[190:191] op_sel_hi:[1,0,1]
	v_pk_fma_f32 v[172:173], v[172:173], s[18:19], v[190:191] op_sel_hi:[1,0,1] neg_lo:[0,0,1] neg_hi:[0,0,1]
	v_pk_mul_f32 v[190:191], v[174:175], s[26:27] op_sel:[1,0] op_sel_hi:[0,0]
	v_pk_mul_f32 v[38:39], v[38:39], s[36:37] op_sel:[1,0] op_sel_hi:[0,0]
	v_pk_fma_f32 v[174:175], v[176:177], s[24:25], v[190:191] op_sel_hi:[1,0,1]
	v_pk_fma_f32 v[176:177], v[176:177], s[24:25], v[190:191] op_sel_hi:[1,0,1] neg_lo:[0,0,1] neg_hi:[0,0,1]
	v_pk_fma_f32 v[190:191], v[34:35], s[34:35], v[38:39] op_sel_hi:[1,0,1]
	v_pk_fma_f32 v[192:193], v[34:35], s[34:35], v[38:39] op_sel_hi:[1,0,1] neg_lo:[0,0,1] neg_hi:[0,0,1]
	v_pk_mul_f32 v[34:35], v[196:197], s[40:41] op_sel:[1,0] op_sel_hi:[0,0]
	v_pk_fma_f32 v[196:197], v[194:195], s[4:5], v[34:35] op_sel_hi:[1,0,1]
	v_pk_fma_f32 v[198:199], v[194:195], s[4:5], v[34:35] op_sel_hi:[1,0,1] neg_lo:[0,0,1] neg_hi:[0,0,1]
	v_mov_b32_e32 v34, v190
	v_mov_b32_e32 v35, v193
	v_pk_add_f32 v[34:35], v[0:1], v[34:35]
	v_mov_b32_e32 v38, v196
	v_mov_b32_e32 v39, v199
	v_pk_add_f32 v[34:35], v[38:39], v[34:35]
	v_pk_mul_f32 v[38:39], v[204:205], s[30:31] op_sel:[1,0] op_sel_hi:[0,0]
	v_pk_fma_f32 v[204:205], v[200:201], s[28:29], v[38:39] op_sel_hi:[1,0,1]
	v_pk_fma_f32 v[206:207], v[200:201], s[28:29], v[38:39] op_sel_hi:[1,0,1] neg_lo:[0,0,1] neg_hi:[0,0,1]
	v_mov_b32_e32 v38, v204
	v_mov_b32_e32 v39, v207
	v_pk_add_f32 v[34:35], v[38:39], v[34:35]
	v_mov_b32_e32 v38, v170
	v_mov_b32_e32 v39, v173
	v_pk_add_f32 v[34:35], v[38:39], v[34:35]
	;; [unrolled: 3-line block ×3, first 2 shown]
	v_pk_mul_f32 v[38:39], v[220:221], s[38:39] op_sel:[1,0] op_sel_hi:[0,0]
	v_pk_fma_f32 v[208:209], v[218:219], s[6:7], v[38:39] op_sel_hi:[1,0,1]
	v_pk_fma_f32 v[210:211], v[218:219], s[6:7], v[38:39] op_sel_hi:[1,0,1] neg_lo:[0,0,1] neg_hi:[0,0,1]
	v_mov_b32_e32 v38, v208
	v_mov_b32_e32 v39, v211
	v_pk_add_f32 v[38:39], v[38:39], v[34:35]
	v_pk_mul_f32 v[34:35], v[220:221], s[40:41] op_sel:[1,0] op_sel_hi:[0,0]
	v_pk_fma_f32 v[194:195], v[218:219], s[4:5], v[34:35] op_sel_hi:[1,0,1] neg_lo:[0,0,1] neg_hi:[0,0,1]
	v_pk_fma_f32 v[200:201], v[218:219], s[4:5], v[34:35] op_sel_hi:[1,0,1]
	v_mov_b32_e32 v35, v195
	v_mov_b32_e32 v34, v200
	v_lshrrev_b32_e32 v3, 1, v100
	v_pk_add_f32 v[34:35], v[34:35], v[216:217]
	v_accvgpr_write_b32 a27, v3
	s_and_saveexec_b64 s[4:5], s[2:3]
	s_cbranch_execz .LBB0_11
; %bb.10:
	v_pk_add_f32 v[82:83], v[0:1], v[82:83]
	v_mov_b32_e32 v89, v115
	v_pk_add_f32 v[42:43], v[82:83], v[42:43]
	v_mov_b32_e32 v99, v117
	v_pk_add_f32 v[42:43], v[42:43], v[68:69]
	v_mov_b32_e32 v105, v119
	v_pk_add_f32 v[36:37], v[42:43], v[36:37]
	v_mov_b32_e32 v113, v123
	v_pk_add_f32 v[36:37], v[36:37], v[40:41]
	v_accvgpr_read_b32 v7, a27
	v_pk_add_f32 v[12:13], v[36:37], v[12:13]
	v_mov_b32_e32 v121, v129
	v_pk_add_f32 v[12:13], v[12:13], v[14:15]
	v_mul_u32_u24_e32 v7, 26, v7
	v_pk_add_f32 v[10:11], v[12:13], v[10:11]
	v_pk_add_f32 v[12:13], v[0:1], v[88:89]
	;; [unrolled: 1-line block ×4, first 2 shown]
	v_accvgpr_read_b32 v8, a7
	v_pk_add_f32 v[12:13], v[104:105], v[12:13]
	v_pk_add_f32 v[10:11], v[10:11], v[18:19]
	;; [unrolled: 1-line block ×3, first 2 shown]
	v_mov_b32_e32 v149, v189
	v_or_b32_e32 v7, v7, v8
	v_pk_add_f32 v[10:11], v[10:11], v[20:21]
	v_pk_add_f32 v[12:13], v[120:121], v[12:13]
	v_mov_b32_e32 v125, v109
	v_lshlrev_b32_e32 v8, 3, v7
	v_pk_add_f32 v[10:11], v[10:11], v[22:23]
	v_pk_add_f32 v[12:13], v[148:149], v[12:13]
	v_mov_b32_e32 v81, v79
	v_mov_b32_e32 v127, v147
	ds_write2_b64 v8, v[10:11], v[12:13] offset1:2
	v_pk_add_f32 v[10:11], v[0:1], v[124:125]
	v_pk_add_f32 v[12:13], v[0:1], v[80:81]
	v_mov_b32_e32 v77, v75
	v_mov_b32_e32 v131, v155
	v_pk_add_f32 v[10:11], v[126:127], v[10:11]
	v_pk_add_f32 v[12:13], v[76:77], v[12:13]
	v_mov_b32_e32 v73, v71
	v_mov_b32_e32 v137, v165
	;; [unrolled: 4-line block ×6, first 2 shown]
	v_mov_b32_e32 v5, v107
	ds_write2_b64 v8, v[10:11], v[12:13] offset0:4 offset1:6
	v_pk_add_f32 v[10:11], v[0:1], v[152:153]
	v_mov_b32_e32 v159, v157
	v_pk_add_f32 v[12:13], v[0:1], v[192:193]
	v_mov_b32_e32 v199, v197
	v_pk_add_f32 v[0:1], v[0:1], v[2:3]
	v_pk_add_f32 v[10:11], v[158:159], v[10:11]
	v_mov_b32_e32 v163, v161
	v_pk_add_f32 v[12:13], v[198:199], v[12:13]
	v_mov_b32_e32 v207, v205
	;; [unrolled: 2-line block ×12, first 2 shown]
	v_pk_add_f32 v[10:11], v[186:187], v[10:11]
	v_pk_add_f32 v[12:13], v[210:211], v[12:13]
	;; [unrolled: 1-line block ×3, first 2 shown]
	ds_write2_b64 v8, v[10:11], v[12:13] offset0:8 offset1:10
	ds_write2_b64 v8, v[0:1], v[34:35] offset0:12 offset1:14
	;; [unrolled: 1-line block ×4, first 2 shown]
	ds_write_b64 v8, v[28:29] offset:192
.LBB0_11:
	s_or_b64 exec, exec, s[4:5]
	s_waitcnt lgkmcnt(0)
	s_barrier
	ds_read_b64 v[36:37], v92
	ds_read_b64 v[42:43], v92 offset:6864
	ds_read_b64 v[70:71], v92 offset:4576
	ds_read_b64 v[76:77], v92 offset:2288
	ds_read_b64 v[74:75], v92 offset:9152
	ds_read_b64 v[68:69], v92 offset:11440
	ds_read_b64 v[40:41], v92 offset:13728
	s_movk_i32 s4, 0x67
	v_cmp_lt_u16_e64 s[6:7], s4, v100
	s_movk_i32 s4, 0x68
	v_cmp_gt_u16_e64 s[4:5], s4, v100
                                        ; implicit-def: $vgpr78
                                        ; implicit-def: $vgpr80
	s_and_saveexec_b64 s[18:19], s[4:5]
	s_cbranch_execz .LBB0_13
; %bb.12:
	ds_read_b64 v[32:33], v92 offset:6032
	ds_read_b64 v[30:31], v92 offset:8320
	;; [unrolled: 1-line block ×7, first 2 shown]
	s_waitcnt lgkmcnt(2)
	v_mov_b32_e32 v80, v79
.LBB0_13:
	s_or_b64 exec, exec, s[18:19]
	s_movk_i32 s18, 0x4f
	v_mul_lo_u16_sdwa v0, v100, s18 dst_sel:DWORD dst_unused:UNUSED_PAD src0_sel:BYTE_0 src1_sel:DWORD
	v_lshrrev_b16_e32 v84, 11, v0
	v_mul_lo_u16_e32 v0, 26, v84
	v_sub_u16_e32 v0, v100, v0
	v_and_b32_e32 v93, 0xff, v0
	v_mad_u64_u32 v[82:83], s[18:19], v93, 48, s[0:1]
	s_movk_i32 s18, 0x4ec5
	s_nop 0
	v_mul_u32_u24_sdwa v0, v24, s18 dst_sel:DWORD dst_unused:UNUSED_PAD src0_sel:WORD_0 src1_sel:DWORD
	v_lshrrev_b32_e32 v0, 19, v0
	v_accvgpr_write_b32 a15, v0
	v_mul_lo_u16_e32 v0, 26, v0
	v_sub_u16_e32 v0, v24, v0
	v_mul_lo_u16_e32 v72, 48, v0
	v_mov_b32_e32 v73, 0
	global_load_dwordx4 v[16:19], v[82:83], off offset:208
	global_load_dwordx4 v[12:15], v[82:83], off offset:192
	v_accvgpr_write_b32 a26, v0
	v_lshl_add_u64 v[24:25], s[0:1], 0, v[72:73]
	global_load_dwordx4 v[20:23], v[82:83], off offset:224
	global_load_dwordx4 v[4:7], v[24:25], off offset:192
	;; [unrolled: 1-line block ×4, first 2 shown]
	s_mov_b32 s26, 0x3f4a47b2
	s_mov_b32 s20, 0x3f3bfb3b
	s_mov_b32 s28, 0x3eae86e6
	s_mov_b32 s22, 0x3f5ff5aa
	s_mov_b32 s24, 0x3f955555
	s_mov_b32 s30, 0x3d64c772
	s_mov_b32 s34, 0xbf08b237
	s_mov_b32 s18, 0x3ee1c552
	s_waitcnt lgkmcnt(0)
	s_barrier
	s_waitcnt vmcnt(5)
	v_mul_f32_e32 v81, v43, v16
	v_mul_f32_e32 v79, v75, v18
	s_waitcnt vmcnt(4)
	v_mul_f32_e32 v82, v71, v15
	s_waitcnt vmcnt(3)
	;; [unrolled: 2-line block ×3, first 2 shown]
	v_pk_mul_f32 v[24:25], v[38:39], v[4:5] op_sel:[1,0]
	v_pk_mul_f32 v[86:87], v[32:33], v[6:7] op_sel:[1,0]
	s_waitcnt vmcnt(1)
	v_pk_mul_f32 v[88:89], v[30:31], v[0:1] op_sel:[1,0]
	v_mov_b32_e32 v72, v3
	s_waitcnt vmcnt(0)
	v_pk_mul_f32 v[90:91], v[28:29], v[8:9] op_sel:[0,1]
	v_pk_mul_f32 v[94:95], v[80:81], v[10:11] op_sel_hi:[0,1]
	v_fma_f32 v80, v70, v14, -v82
	v_fma_f32 v82, v68, v20, -v96
	v_pk_fma_f32 v[96:97], v[38:39], v[4:5], v[24:25] op_sel:[0,0,1] op_sel_hi:[0,1,0]
	v_pk_fma_f32 v[24:25], v[38:39], v[4:5], v[24:25] op_sel:[0,0,1] op_sel_hi:[0,1,0] neg_lo:[0,0,1] neg_hi:[0,0,1]
	v_pk_fma_f32 v[38:39], v[32:33], v[6:7], v[86:87] op_sel:[0,0,1] op_sel_hi:[0,1,0]
	v_pk_fma_f32 v[32:33], v[32:33], v[6:7], v[86:87] op_sel:[0,0,1] op_sel_hi:[0,1,0] neg_lo:[0,0,1] neg_hi:[0,0,1]
	;; [unrolled: 2-line block ×3, first 2 shown]
	v_pk_mul_f32 v[88:89], v[26:27], v[72:73] op_sel_hi:[1,0]
	v_pk_fma_f32 v[98:99], v[28:29], v[8:9], v[90:91] op_sel:[0,0,1] op_sel_hi:[1,0,0]
	v_pk_fma_f32 v[28:29], v[28:29], v[8:9], v[90:91] op_sel:[0,0,1] op_sel_hi:[1,0,0] neg_lo:[0,0,1] neg_hi:[0,0,1]
	v_pk_fma_f32 v[90:91], v[78:79], v[10:11], v[94:95] op_sel:[0,0,1] op_sel_hi:[0,1,0]
	v_pk_fma_f32 v[94:95], v[78:79], v[10:11], v[94:95] op_sel:[0,0,1] op_sel_hi:[0,1,0] neg_lo:[0,0,1] neg_hi:[0,0,1]
	v_mov_b32_e32 v25, v97
	v_mov_b32_e32 v33, v39
	v_pk_fma_f32 v[38:39], v[26:27], v[2:3], v[88:89] op_sel:[0,0,1] op_sel_hi:[1,0,0]
	v_pk_fma_f32 v[26:27], v[26:27], v[2:3], v[88:89] op_sel:[0,0,1] op_sel_hi:[1,0,0] neg_lo:[0,0,1] neg_hi:[0,0,1]
	v_mov_b32_e32 v29, v99
	v_mov_b32_e32 v95, v91
	v_mov_b32_e32 v31, v87
	v_mov_b32_e32 v27, v39
	v_pk_add_f32 v[38:39], v[24:25], v[94:95]
	v_pk_add_f32 v[86:87], v[32:33], v[28:29]
	v_pk_add_f32 v[28:29], v[32:33], v[28:29] neg_lo:[0,1] neg_hi:[0,1]
	v_pk_add_f32 v[32:33], v[30:31], v[26:27]
	v_pk_add_f32 v[26:27], v[26:27], v[30:31] neg_lo:[0,1] neg_hi:[0,1]
	;; [unrolled: 2-line block ×3, first 2 shown]
	v_mov_b32_e32 v98, v32
	v_mov_b32_e32 v99, v31
	;; [unrolled: 1-line block ×3, first 2 shown]
	v_pk_add_f32 v[88:89], v[86:87], v[38:39] neg_lo:[0,1] neg_hi:[0,1]
	v_pk_add_f32 v[90:91], v[28:29], v[24:25] op_sel:[1,1] op_sel_hi:[0,0] neg_lo:[0,1] neg_hi:[0,1]
	v_pk_add_f32 v[38:39], v[38:39], v[32:33] neg_lo:[0,1] neg_hi:[0,1]
	v_pk_add_f32 v[94:95], v[26:27], v[28:29] op_sel:[1,1] op_sel_hi:[0,0]
	v_pk_add_f32 v[96:97], v[24:25], v[26:27] op_sel:[1,1] op_sel_hi:[0,0] neg_lo:[0,1] neg_hi:[0,1]
	v_pk_add_f32 v[26:27], v[26:27], v[28:29] op_sel:[1,1] op_sel_hi:[0,0] neg_lo:[0,1] neg_hi:[0,1]
	v_pk_add_f32 v[28:29], v[98:99], v[30:31]
	v_pk_mul_f32 v[102:103], v[88:89], s[20:21] op_sel_hi:[1,0]
	v_pk_mul_f32 v[90:91], v[90:91], s[22:23] op_sel_hi:[1,0]
	v_pk_add_f32 v[32:33], v[32:33], v[86:87] neg_lo:[0,1] neg_hi:[0,1]
	v_pk_add_f32 v[30:31], v[94:95], v[24:25] op_sel:[0,1] op_sel_hi:[1,0]
	v_pk_mul_f32 v[38:39], v[38:39], s[26:27] op_sel_hi:[1,0]
	v_pk_mul_f32 v[86:87], v[96:97], s[28:29] op_sel_hi:[1,0]
	v_pk_add_f32 v[24:25], v[34:35], v[28:29]
	v_pk_fma_f32 v[94:95], v[96:97], s[28:29], v[90:91] op_sel_hi:[1,0,1] neg_lo:[1,0,1] neg_hi:[1,0,1]
	v_pk_fma_f32 v[96:97], v[32:33], s[30:31], v[102:103] op_sel_hi:[1,0,1] neg_lo:[1,0,0] neg_hi:[1,0,0]
	v_pk_fma_f32 v[90:91], v[26:27], s[34:35], v[90:91] op_sel_hi:[1,0,1] neg_lo:[1,0,0] neg_hi:[1,0,0]
	v_pk_fma_f32 v[34:35], v[88:89], s[20:21], v[38:39] op_sel_hi:[1,0,1] neg_lo:[1,0,1] neg_hi:[1,0,1]
	v_pk_fma_f32 v[32:33], v[32:33], s[30:31], v[38:39] op_sel_hi:[1,0,1]
	v_pk_fma_f32 v[26:27], v[26:27], s[34:35], v[86:87] op_sel_hi:[1,0,1]
	v_pk_fma_f32 v[28:29], v[28:29], s[24:25], v[24:25] op_sel_hi:[1,0,1] neg_lo:[1,0,0] neg_hi:[1,0,0]
	v_mul_f32_e32 v85, v74, v19
	v_pk_add_f32 v[34:35], v[34:35], v[28:29]
	v_pk_add_f32 v[38:39], v[96:97], v[28:29]
	;; [unrolled: 1-line block ×3, first 2 shown]
	v_pk_fma_f32 v[96:97], v[30:31], s[18:19], v[26:27] op_sel_hi:[1,0,1]
	v_pk_fma_f32 v[28:29], v[30:31], s[18:19], v[90:91] op_sel_hi:[1,0,1]
	;; [unrolled: 1-line block ×3, first 2 shown]
	v_pk_add_f32 v[26:27], v[38:39], v[28:29]
	v_pk_add_f32 v[28:29], v[38:39], v[28:29] neg_lo:[0,1] neg_hi:[0,1]
	v_pk_add_f32 v[30:31], v[34:35], v[32:33]
	v_pk_add_f32 v[32:33], v[34:35], v[32:33] neg_lo:[0,1] neg_hi:[0,1]
	v_pk_add_f32 v[34:35], v[86:87], v[96:97] neg_lo:[0,1] neg_hi:[0,1]
	v_pk_add_f32 v[38:39], v[86:87], v[96:97]
	v_pk_mul_f32 v[86:87], v[76:77], v[12:13] op_sel_hi:[1,0]
	v_mov_b32_e32 v94, v14
	v_pk_fma_f32 v[90:91], v[76:77], v[12:13], v[86:87] op_sel:[0,1,1] op_sel_hi:[1,1,0]
	v_pk_fma_f32 v[76:77], v[76:77], v[12:13], v[86:87] op_sel:[0,1,1] op_sel_hi:[1,1,0] neg_lo:[1,0,0] neg_hi:[1,0,0]
	v_mov_b32_e32 v86, v71
	v_mov_b32_e32 v87, v74
	;; [unrolled: 1-line block ×6, first 2 shown]
	v_pk_mul_f32 v[70:71], v[70:71], v[74:75]
	v_mul_f32_e32 v83, v42, v17
	v_pk_fma_f32 v[74:75], v[86:87], v[14:15], v[70:71]
	v_pk_fma_f32 v[70:71], v[86:87], v[94:95], v[70:71] neg_lo:[0,0,1] neg_hi:[0,0,1]
	v_mov_b32_e32 v86, v69
	v_mov_b32_e32 v87, v42
	;; [unrolled: 1-line block ×6, first 2 shown]
	v_mul_u32_u24_e32 v26, 0xb6, v84
	v_mov_b32_e32 v94, v20
	v_mov_b32_e32 v95, v16
	v_pk_mul_f32 v[42:43], v[68:69], v[42:43]
	v_add_lshl_u32 v93, v26, v93, 3
	v_pk_fma_f32 v[68:69], v[86:87], v[20:21], v[42:43]
	v_pk_fma_f32 v[42:43], v[86:87], v[94:95], v[42:43] neg_lo:[0,0,1] neg_hi:[0,0,1]
	v_pk_mul_f32 v[86:87], v[40:41], v[22:23] op_sel_hi:[1,0]
	v_mov_b32_e32 v26, v23
	v_pk_fma_f32 v[94:95], v[40:41], v[26:27], v[86:87] op_sel:[0,0,1] op_sel_hi:[1,0,0]
	v_pk_fma_f32 v[40:41], v[40:41], v[26:27], v[86:87] op_sel:[0,0,1] op_sel_hi:[1,0,0] neg_lo:[1,0,0] neg_hi:[1,0,0]
	v_accvgpr_write_b32 a28, v38
	v_mov_b32_e32 v91, v77
	v_mov_b32_e32 v75, v71
	;; [unrolled: 1-line block ×6, first 2 shown]
	v_accvgpr_write_b32 a29, v39
	v_mov_b32_e32 v121, v39
	v_pk_add_f32 v[38:39], v[80:81], v[82:83]
	v_pk_add_f32 v[86:87], v[90:91], v[94:95]
	v_pk_add_f32 v[90:91], v[90:91], v[94:95] neg_lo:[0,1] neg_hi:[0,1]
	v_pk_add_f32 v[94:95], v[74:75], v[68:69]
	v_pk_add_f32 v[40:41], v[78:79], v[84:85]
	v_pk_add_f32 v[68:69], v[74:75], v[68:69] neg_lo:[0,1] neg_hi:[0,1]
	v_mov_b32_e32 v74, v41
	v_mov_b32_e32 v75, v80
	v_mov_b32_e32 v76, v39
	v_mov_b32_e32 v77, v82
	v_mov_b32_e32 v42, v43
	v_mov_b32_e32 v43, v94
	v_mov_b32_e32 v70, v71
	v_mov_b32_e32 v71, v86
	v_pk_add_f32 v[74:75], v[74:75], v[76:77] neg_lo:[0,1] neg_hi:[0,1]
	v_pk_add_f32 v[84:85], v[38:39], v[40:41]
	v_pk_add_f32 v[42:43], v[42:43], v[70:71]
	v_mov_b32_e32 v80, v74
	v_mov_b32_e32 v81, v91
	;; [unrolled: 1-line block ×6, first 2 shown]
	v_pk_add_f32 v[80:81], v[80:81], v[68:69] neg_lo:[0,1] neg_hi:[0,1]
	s_mov_b32 s35, s28
	v_pk_add_f32 v[70:71], v[70:71], v[38:39] neg_lo:[0,1] neg_hi:[0,1]
	v_mov_b32_e32 v41, v85
	v_mov_b32_e32 v96, v42
	;; [unrolled: 1-line block ×3, first 2 shown]
	v_pk_add_f32 v[42:43], v[84:85], v[42:43]
	s_mov_b32 s31, s26
	v_pk_add_f32 v[76:77], v[76:77], v[74:75] neg_lo:[0,1] neg_hi:[0,1]
	s_mov_b32 s29, s34
	v_pk_mul_f32 v[80:81], v[80:81], s[34:35]
	v_pk_add_f32 v[82:83], v[68:69], v[74:75]
	v_pk_add_f32 v[96:97], v[40:41], v[96:97] neg_lo:[0,1] neg_hi:[0,1]
	v_pk_add_f32 v[36:37], v[36:37], v[42:43]
	v_pk_mul_f32 v[70:71], v[70:71], s[30:31]
	s_mov_b32 s27, s30
	v_pk_mul_f32 v[78:79], v[76:77], s[28:29]
	v_pk_add_f32 v[82:83], v[82:83], v[90:91]
	v_pk_mul_f32 v[84:85], v[96:97], s[26:27]
	v_pk_fma_f32 v[42:43], v[42:43], s[24:25], v[36:37] op_sel_hi:[1,0,1] neg_lo:[1,0,0] neg_hi:[1,0,0]
	v_pk_fma_f32 v[96:97], v[96:97], s[26:27], v[70:71]
	v_pk_fma_f32 v[76:77], v[76:77], s[28:29], v[80:81]
	v_pk_add_f32 v[96:97], v[96:97], v[42:43]
	v_pk_fma_f32 v[76:77], v[82:83], s[18:19], v[76:77] op_sel_hi:[1,0,1]
	v_mov_b32_e32 v69, v75
	v_pk_add_f32 v[98:99], v[96:97], v[76:77]
	v_pk_add_f32 v[76:77], v[96:97], v[76:77] neg_lo:[0,1] neg_hi:[0,1]
	v_mov_b32_e32 v96, v98
	v_mov_b32_e32 v97, v77
	;; [unrolled: 1-line block ×4, first 2 shown]
	s_movk_i32 s21, 0xb6
	ds_write2_b64 v93, v[36:37], v[96:97] offset1:26
	v_pk_add_f32 v[36:37], v[68:69], v[90:91] neg_lo:[0,1] neg_hi:[0,1]
	v_pk_add_f32 v[38:39], v[38:39], v[40:41] neg_lo:[0,1] neg_hi:[0,1]
	v_mov_b32_e32 v40, v84
	v_mov_b32_e32 v41, v71
	;; [unrolled: 1-line block ×6, first 2 shown]
	v_pk_fma_f32 v[40:41], v[38:39], s[20:21], v[40:41] op_sel_hi:[1,0,1] neg_lo:[1,0,1] neg_hi:[1,0,1]
	v_pk_fma_f32 v[68:69], v[36:37], s[22:23], v[68:69] op_sel_hi:[1,0,1] neg_lo:[1,0,1] neg_hi:[1,0,1]
	;; [unrolled: 1-line block ×4, first 2 shown]
	v_pk_add_f32 v[40:41], v[40:41], v[42:43]
	v_pk_fma_f32 v[68:69], v[82:83], s[18:19], v[68:69] op_sel_hi:[1,0,1]
	v_pk_add_f32 v[38:39], v[38:39], v[42:43]
	v_pk_fma_f32 v[36:37], v[82:83], s[18:19], v[36:37] op_sel_hi:[1,0,1]
	v_pk_add_f32 v[74:75], v[40:41], v[68:69]
	v_pk_add_f32 v[40:41], v[40:41], v[68:69] neg_lo:[0,1] neg_hi:[0,1]
	v_pk_add_f32 v[42:43], v[38:39], v[36:37] neg_lo:[0,1] neg_hi:[0,1]
	v_pk_add_f32 v[36:37], v[38:39], v[36:37]
	v_mov_b32_e32 v89, v29
	v_mov_b32_e32 v124, v32
	v_mov_b32_e32 v125, v31
	v_mov_b32_e32 v120, v34
	v_mov_b32_e32 v68, v74
	v_mov_b32_e32 v69, v41
	v_mov_b32_e32 v38, v42
	v_mov_b32_e32 v39, v37
	v_mov_b32_e32 v37, v43
	v_mov_b32_e32 v41, v75
	v_mov_b32_e32 v77, v99
	ds_write2_b64 v93, v[68:69], v[38:39] offset0:52 offset1:78
	ds_write2_b64 v93, v[36:37], v[40:41] offset0:104 offset1:130
	ds_write_b64 v93, v[76:77] offset:1248
	s_and_saveexec_b64 s[18:19], s[4:5]
	s_cbranch_execz .LBB0_15
; %bb.14:
	v_accvgpr_read_b32 v26, a15
	v_accvgpr_read_b32 v29, a26
	;; [unrolled: 1-line block ×3, first 2 shown]
	v_mad_legacy_u16 v26, v26, s21, v29
	v_accvgpr_read_b32 v36, a28
	v_lshlrev_b32_e32 v26, 3, v26
	v_mov_b32_e32 v34, v36
	v_mov_b32_e32 v31, v33
	;; [unrolled: 1-line block ×3, first 2 shown]
	ds_write2_b64 v26, v[24:25], v[34:35] offset1:26
	ds_write2_b64 v26, v[30:31], v[28:29] offset0:52 offset1:78
	ds_write2_b64 v26, v[88:89], v[124:125] offset0:104 offset1:130
	ds_write_b64 v26, v[120:121] offset:1248
.LBB0_15:
	s_or_b64 exec, exec, s[18:19]
	s_movk_i32 s18, 0x50
	v_mov_b64_e32 v[24:25], s[0:1]
	v_mad_u64_u32 v[68:69], s[0:1], v100, s18, v[24:25]
	s_waitcnt lgkmcnt(0)
	s_barrier
	global_load_dwordx4 v[24:27], v[68:69], off offset:1440
	global_load_dwordx4 v[40:43], v[68:69], off offset:1456
	;; [unrolled: 1-line block ×5, first 2 shown]
	v_add_u32_e32 v74, 0xa00, v92
	ds_read2_b64 v[68:71], v92 offset1:182
	v_accvgpr_write_b32 a6, v100
	v_lshlrev_b32_e32 v72, 3, v100
	v_add_u32_e32 v100, 0x2c00, v92
	v_add_u32_e32 v101, 0x1600, v92
	;; [unrolled: 1-line block ×3, first 2 shown]
	ds_read2_b64 v[76:79], v74 offset0:44 offset1:226
	ds_read2_b64 v[80:83], v100 offset0:48 offset1:230
	;; [unrolled: 1-line block ×4, first 2 shown]
	ds_read_b64 v[140:141], v92 offset:14560
	s_mov_b32 s20, 0xbf68dda4
	s_mov_b32 s18, 0x3ed4b147
	;; [unrolled: 1-line block ×9, first 2 shown]
	v_lshl_add_u64 v[72:73], s[16:17], 0, v[72:73]
	s_mov_b32 s16, 0xbf75a155
	s_mov_b32 s30, 0x3f0a6770
	;; [unrolled: 1-line block ×4, first 2 shown]
	s_waitcnt vmcnt(4) lgkmcnt(5)
	v_pk_mul_f32 v[98:99], v[70:71], v[24:25] op_sel:[1,0] op_sel_hi:[0,1]
	v_mov_b32_e32 v102, v27
	s_waitcnt vmcnt(3) lgkmcnt(4)
	v_pk_mul_f32 v[104:105], v[78:79], v[40:41] op_sel:[0,1]
	v_mov_b32_e32 v106, v43
	s_waitcnt vmcnt(2) lgkmcnt(2)
	v_pk_mul_f32 v[108:109], v[86:87], v[36:37] op_sel:[0,1]
	;; [unrolled: 3-line block ×3, first 2 shown]
	v_mov_b32_e32 v114, v31
	s_waitcnt vmcnt(0)
	v_pk_mul_f32 v[116:117], v[82:83], v[32:33] op_sel:[0,1]
	v_mov_b32_e32 v75, v98
	v_pk_mul_f32 v[98:99], v[76:77], v[102:103] op_sel_hi:[1,0]
	v_mov_b32_e32 v90, v25
	v_pk_fma_f32 v[102:103], v[78:79], v[40:41], v[104:105] op_sel:[0,0,1] op_sel_hi:[1,1,0] neg_lo:[0,0,1] neg_hi:[0,0,1]
	v_pk_fma_f32 v[78:79], v[78:79], v[40:41], v[104:105] op_sel:[0,0,1] op_sel_hi:[1,0,0]
	v_pk_mul_f32 v[104:105], v[84:85], v[106:107] op_sel_hi:[1,0]
	v_pk_fma_f32 v[106:107], v[86:87], v[36:37], v[108:109] op_sel:[0,0,1] op_sel_hi:[1,1,0] neg_lo:[0,0,1] neg_hi:[0,0,1]
	v_pk_fma_f32 v[86:87], v[86:87], v[36:37], v[108:109] op_sel:[0,0,1] op_sel_hi:[1,0,0]
	v_pk_mul_f32 v[108:109], v[94:95], v[110:111] op_sel_hi:[1,0]
	;; [unrolled: 3-line block ×3, first 2 shown]
	v_pk_fma_f32 v[114:115], v[82:83], v[32:33], v[116:117] op_sel:[0,0,1] op_sel_hi:[1,1,0] neg_lo:[0,0,1] neg_hi:[0,0,1]
	v_pk_fma_f32 v[82:83], v[82:83], v[32:33], v[116:117] op_sel:[0,0,1] op_sel_hi:[1,0,0]
	v_pk_fma_f32 v[116:117], v[76:77], v[26:27], v[98:99] op_sel:[0,0,1] op_sel_hi:[1,1,0] neg_lo:[0,0,1] neg_hi:[0,0,1]
	v_pk_fma_f32 v[76:77], v[76:77], v[26:27], v[98:99] op_sel:[0,0,1] op_sel_hi:[1,0,0]
	v_pk_mul_f32 v[90:91], v[70:71], v[90:91] op_sel:[1,0] op_sel_hi:[0,1]
	v_mov_b32_e32 v115, v83
	v_mov_b32_e32 v117, v77
	v_pk_fma_f32 v[90:91], v[70:71], v[24:25], v[90:91] neg_lo:[0,0,1] neg_hi:[0,0,1]
	v_pk_fma_f32 v[70:71], v[70:71], v[24:25], v[74:75] op_sel:[1,0,0] op_sel_hi:[0,1,1]
	v_pk_add_f32 v[76:77], v[116:117], v[114:115] neg_lo:[0,1] neg_hi:[0,1]
	v_mov_b32_e32 v91, v71
	v_pk_add_f32 v[70:71], v[116:117], v[114:115]
	v_pk_mul_f32 v[98:99], v[76:77], s[20:21] op_sel:[1,0] op_sel_hi:[0,0]
	v_mov_b32_e32 v111, v97
	v_pk_fma_f32 v[96:97], v[80:81], v[30:31], v[112:113] op_sel:[0,0,1] op_sel_hi:[1,1,0] neg_lo:[0,0,1] neg_hi:[0,0,1]
	v_pk_fma_f32 v[80:81], v[80:81], v[30:31], v[112:113] op_sel:[0,0,1] op_sel_hi:[1,0,0]
	v_pk_fma_f32 v[112:113], v[70:71], s[18:19], v[98:99] op_sel_hi:[1,0,1]
	v_mov_b32_e32 v103, v79
	v_mov_b32_e32 v126, v112
	;; [unrolled: 1-line block ×3, first 2 shown]
	s_waitcnt lgkmcnt(0)
	v_pk_mul_f32 v[144:145], v[140:141], v[112:113] op_sel_hi:[1,0]
	v_pk_fma_f32 v[78:79], v[84:85], v[42:43], v[104:105] op_sel:[0,0,1] op_sel_hi:[1,1,0] neg_lo:[0,0,1] neg_hi:[0,0,1]
	v_pk_fma_f32 v[146:147], v[140:141], v[34:35], v[144:145] op_sel:[0,0,1] op_sel_hi:[1,1,0] neg_lo:[0,0,1] neg_hi:[0,0,1]
	v_pk_fma_f32 v[140:141], v[140:141], v[34:35], v[144:145] op_sel:[0,0,1] op_sel_hi:[1,0,0]
	v_pk_fma_f32 v[84:85], v[84:85], v[42:43], v[104:105] op_sel:[0,0,1] op_sel_hi:[1,0,0]
	v_mov_b32_e32 v147, v141
	v_pk_add_f32 v[140:141], v[68:69], v[90:91]
	v_mov_b32_e32 v97, v81
	v_pk_add_f32 v[116:117], v[140:141], v[116:117]
	v_mov_b32_e32 v107, v87
	v_pk_fma_f32 v[86:87], v[94:95], v[38:39], v[108:109] op_sel:[0,0,1] op_sel_hi:[1,1,0] neg_lo:[0,0,1] neg_hi:[0,0,1]
	v_pk_fma_f32 v[94:95], v[94:95], v[38:39], v[108:109] op_sel:[0,0,1] op_sel_hi:[1,0,0]
	v_mov_b32_e32 v79, v85
	v_pk_add_f32 v[80:81], v[102:103], v[96:97]
	v_pk_add_f32 v[82:83], v[102:103], v[96:97] neg_lo:[0,1] neg_hi:[0,1]
	v_pk_add_f32 v[102:103], v[116:117], v[102:103]
	v_mov_b32_e32 v87, v95
	v_pk_add_f32 v[84:85], v[78:79], v[110:111]
	v_pk_add_f32 v[94:95], v[78:79], v[110:111] neg_lo:[0,1] neg_hi:[0,1]
	v_pk_add_f32 v[78:79], v[102:103], v[78:79]
	v_pk_add_f32 v[132:133], v[106:107], v[86:87]
	;; [unrolled: 1-line block ×3, first 2 shown]
	v_pk_add_f32 v[134:135], v[106:107], v[86:87] neg_lo:[0,1] neg_hi:[0,1]
	v_pk_add_f32 v[78:79], v[78:79], v[86:87]
	v_pk_add_f32 v[86:87], v[90:91], v[146:147]
	;; [unrolled: 1-line block ×3, first 2 shown]
	v_pk_add_f32 v[90:91], v[90:91], v[146:147] neg_lo:[0,1] neg_hi:[0,1]
	v_pk_add_f32 v[78:79], v[78:79], v[96:97]
	v_pk_mul_f32 v[96:97], v[90:91], s[36:37] op_sel:[1,0] op_sel_hi:[0,0]
	v_pk_fma_f32 v[102:103], v[86:87], s[28:29], v[96:97] op_sel_hi:[1,0,1]
	v_pk_fma_f32 v[96:97], v[86:87], s[28:29], v[96:97] op_sel_hi:[1,0,1] neg_lo:[0,0,1] neg_hi:[0,0,1]
	v_pk_mul_f32 v[104:105], v[82:83], s[26:27] op_sel:[1,0] op_sel_hi:[0,0]
	v_pk_fma_f32 v[98:99], v[70:71], s[18:19], v[98:99] op_sel_hi:[1,0,1] neg_lo:[0,0,1] neg_hi:[0,0,1]
	v_mov_b32_e32 v107, v97
	v_mov_b32_e32 v97, v103
	v_pk_mul_f32 v[108:109], v[94:95], s[24:25] op_sel:[1,0] op_sel_hi:[0,0]
	v_pk_fma_f32 v[118:119], v[80:81], s[0:1], v[104:105] op_sel_hi:[1,0,1]
	v_pk_fma_f32 v[104:105], v[80:81], s[0:1], v[104:105] op_sel_hi:[1,0,1] neg_lo:[0,0,1] neg_hi:[0,0,1]
	v_mov_b32_e32 v127, v99
	v_mov_b32_e32 v99, v113
	v_pk_add_f32 v[96:97], v[68:69], v[96:97]
	v_pk_fma_f32 v[122:123], v[84:85], s[22:23], v[108:109] op_sel_hi:[1,0,1]
	v_mov_b32_e32 v129, v105
	v_pk_fma_f32 v[108:109], v[84:85], s[22:23], v[108:109] op_sel_hi:[1,0,1] neg_lo:[0,0,1] neg_hi:[0,0,1]
	v_pk_mul_f32 v[136:137], v[134:135], s[34:35] op_sel:[1,0] op_sel_hi:[0,0]
	v_mov_b32_e32 v105, v119
	v_pk_add_f32 v[96:97], v[98:99], v[96:97]
	v_mov_b32_e32 v131, v109
	v_pk_fma_f32 v[138:139], v[132:133], s[16:17], v[136:137] op_sel_hi:[1,0,1]
	v_pk_fma_f32 v[136:137], v[132:133], s[16:17], v[136:137] op_sel_hi:[1,0,1] neg_lo:[0,0,1] neg_hi:[0,0,1]
	v_mov_b32_e32 v109, v123
	v_pk_add_f32 v[96:97], v[104:105], v[96:97]
	v_mov_b32_e32 v143, v137
	v_pk_add_f32 v[78:79], v[78:79], v[114:115]
	v_mov_b32_e32 v106, v102
	v_mov_b32_e32 v137, v139
	v_pk_add_f32 v[96:97], v[108:109], v[96:97]
	v_pk_add_f32 v[78:79], v[78:79], v[146:147]
	;; [unrolled: 1-line block ×4, first 2 shown]
	v_mov_b32_e32 v128, v118
	v_pk_add_f32 v[106:107], v[126:127], v[106:107]
	ds_write2_b64 v92, v[78:79], v[96:97] offset1:182
	v_pk_mul_f32 v[78:79], v[90:91], s[34:35] op_sel:[1,0] op_sel_hi:[0,0]
	v_mov_b32_e32 v130, v122
	v_pk_add_f32 v[106:107], v[128:129], v[106:107]
	v_pk_fma_f32 v[96:97], v[86:87], s[16:17], v[78:79] op_sel_hi:[1,0,1] neg_lo:[0,0,1] neg_hi:[0,0,1]
	v_pk_fma_f32 v[78:79], v[86:87], s[16:17], v[78:79] op_sel_hi:[1,0,1]
	v_pk_mul_f32 v[102:103], v[76:77], s[30:31] op_sel:[1,0] op_sel_hi:[0,0]
	v_mov_b32_e32 v142, v138
	v_pk_add_f32 v[106:107], v[130:131], v[106:107]
	v_mov_b32_e32 v98, v96
	v_mov_b32_e32 v99, v79
	v_pk_fma_f32 v[104:105], v[70:71], s[28:29], v[102:103] op_sel_hi:[1,0,1] neg_lo:[0,0,1] neg_hi:[0,0,1]
	v_pk_fma_f32 v[102:103], v[70:71], s[28:29], v[102:103] op_sel_hi:[1,0,1]
	v_pk_add_f32 v[126:127], v[142:143], v[106:107]
	v_pk_add_f32 v[98:99], v[68:69], v[98:99]
	v_mov_b32_e32 v106, v104
	v_mov_b32_e32 v107, v103
	v_pk_add_f32 v[98:99], v[106:107], v[98:99]
	v_pk_mul_f32 v[106:107], v[82:83], s[24:25] op_sel:[1,0] op_sel_hi:[0,0]
	v_pk_fma_f32 v[108:109], v[80:81], s[22:23], v[106:107] op_sel_hi:[1,0,1] neg_lo:[0,0,1] neg_hi:[0,0,1]
	v_pk_fma_f32 v[106:107], v[80:81], s[22:23], v[106:107] op_sel_hi:[1,0,1]
	v_mov_b32_e32 v79, v97
	v_mov_b32_e32 v110, v108
	;; [unrolled: 1-line block ×3, first 2 shown]
	v_pk_add_f32 v[78:79], v[68:69], v[78:79]
	v_mov_b32_e32 v103, v105
	v_pk_add_f32 v[98:99], v[110:111], v[98:99]
	v_pk_mul_f32 v[110:111], v[94:95], s[38:39] op_sel:[1,0] op_sel_hi:[0,0]
	v_pk_add_f32 v[78:79], v[102:103], v[78:79]
	v_mov_b32_e32 v107, v109
	v_pk_mul_f32 v[96:97], v[90:91], s[24:25] op_sel:[1,0] op_sel_hi:[0,0]
	v_pk_fma_f32 v[112:113], v[84:85], s[18:19], v[110:111] op_sel_hi:[1,0,1] neg_lo:[0,0,1] neg_hi:[0,0,1]
	v_pk_fma_f32 v[110:111], v[84:85], s[18:19], v[110:111] op_sel_hi:[1,0,1]
	v_pk_add_f32 v[78:79], v[106:107], v[78:79]
	v_pk_fma_f32 v[102:103], v[86:87], s[22:23], v[96:97] op_sel_hi:[1,0,1]
	v_pk_fma_f32 v[96:97], v[86:87], s[22:23], v[96:97] op_sel_hi:[1,0,1] neg_lo:[0,0,1] neg_hi:[0,0,1]
	v_pk_mul_f32 v[106:107], v[76:77], s[40:41] op_sel:[1,0] op_sel_hi:[0,0]
	v_mov_b32_e32 v114, v112
	v_mov_b32_e32 v115, v111
	;; [unrolled: 1-line block ×5, first 2 shown]
	v_pk_fma_f32 v[108:109], v[70:71], s[0:1], v[106:107] op_sel_hi:[1,0,1]
	v_pk_fma_f32 v[106:107], v[70:71], s[0:1], v[106:107] op_sel_hi:[1,0,1] neg_lo:[0,0,1] neg_hi:[0,0,1]
	v_pk_add_f32 v[98:99], v[114:115], v[98:99]
	v_pk_mul_f32 v[114:115], v[134:135], s[26:27] op_sel:[1,0] op_sel_hi:[0,0]
	v_pk_add_f32 v[78:79], v[110:111], v[78:79]
	v_pk_add_f32 v[104:105], v[68:69], v[104:105]
	v_mov_b32_e32 v110, v108
	v_mov_b32_e32 v111, v107
	v_pk_fma_f32 v[116:117], v[132:133], s[0:1], v[114:115] op_sel_hi:[1,0,1] neg_lo:[0,0,1] neg_hi:[0,0,1]
	v_pk_fma_f32 v[114:115], v[132:133], s[0:1], v[114:115] op_sel_hi:[1,0,1]
	v_pk_add_f32 v[104:105], v[110:111], v[104:105]
	v_pk_mul_f32 v[110:111], v[82:83], s[36:37] op_sel:[1,0] op_sel_hi:[0,0]
	v_mov_b32_e32 v119, v115
	v_mov_b32_e32 v115, v117
	v_pk_fma_f32 v[112:113], v[80:81], s[28:29], v[110:111] op_sel_hi:[1,0,1]
	v_pk_fma_f32 v[110:111], v[80:81], s[28:29], v[110:111] op_sel_hi:[1,0,1] neg_lo:[0,0,1] neg_hi:[0,0,1]
	v_pk_add_f32 v[78:79], v[114:115], v[78:79]
	v_mov_b32_e32 v114, v112
	v_mov_b32_e32 v115, v111
	v_pk_add_f32 v[104:105], v[114:115], v[104:105]
	v_pk_mul_f32 v[114:115], v[94:95], s[34:35] op_sel:[1,0] op_sel_hi:[0,0]
	v_mov_b32_e32 v118, v116
	v_pk_fma_f32 v[116:117], v[84:85], s[16:17], v[114:115] op_sel_hi:[1,0,1]
	v_pk_fma_f32 v[114:115], v[84:85], s[16:17], v[114:115] op_sel_hi:[1,0,1] neg_lo:[0,0,1] neg_hi:[0,0,1]
	v_pk_add_f32 v[98:99], v[118:119], v[98:99]
	v_mov_b32_e32 v118, v116
	v_mov_b32_e32 v119, v115
	v_pk_add_f32 v[104:105], v[118:119], v[104:105]
	v_pk_mul_f32 v[118:119], v[134:135], s[38:39] op_sel:[1,0] op_sel_hi:[0,0]
	v_pk_fma_f32 v[122:123], v[132:133], s[18:19], v[118:119] op_sel_hi:[1,0,1]
	v_pk_fma_f32 v[118:119], v[132:133], s[18:19], v[118:119] op_sel_hi:[1,0,1] neg_lo:[0,0,1] neg_hi:[0,0,1]
	v_mov_b32_e32 v128, v122
	v_mov_b32_e32 v129, v119
	v_pk_add_f32 v[104:105], v[128:129], v[104:105]
	v_pk_mul_f32 v[128:129], v[90:91], s[26:27] op_sel:[1,0] op_sel_hi:[0,0]
	s_mov_b32 s26, 0x3e903f40
	v_pk_fma_f32 v[130:131], v[86:87], s[0:1], v[128:129] op_sel_hi:[1,0,1]
	v_pk_fma_f32 v[128:129], v[86:87], s[0:1], v[128:129] op_sel_hi:[1,0,1] neg_lo:[0,0,1] neg_hi:[0,0,1]
	v_pk_mul_f32 v[138:139], v[76:77], s[26:27] op_sel:[1,0] op_sel_hi:[0,0]
	v_mov_b32_e32 v136, v130
	v_mov_b32_e32 v137, v129
	v_pk_fma_f32 v[140:141], v[70:71], s[16:17], v[138:139] op_sel_hi:[1,0,1]
	v_pk_fma_f32 v[138:139], v[70:71], s[16:17], v[138:139] op_sel_hi:[1,0,1] neg_lo:[0,0,1] neg_hi:[0,0,1]
	v_pk_add_f32 v[136:137], v[68:69], v[136:137]
	v_mov_b32_e32 v142, v140
	v_mov_b32_e32 v143, v139
	v_pk_add_f32 v[136:137], v[142:143], v[136:137]
	v_pk_mul_f32 v[142:143], v[82:83], s[38:39] op_sel:[1,0] op_sel_hi:[0,0]
	v_pk_fma_f32 v[144:145], v[80:81], s[18:19], v[142:143] op_sel_hi:[1,0,1]
	v_pk_fma_f32 v[142:143], v[80:81], s[18:19], v[142:143] op_sel_hi:[1,0,1] neg_lo:[0,0,1] neg_hi:[0,0,1]
	v_mov_b32_e32 v146, v144
	v_mov_b32_e32 v147, v143
	v_pk_add_f32 v[136:137], v[146:147], v[136:137]
	v_pk_mul_f32 v[146:147], v[94:95], s[36:37] op_sel:[1,0] op_sel_hi:[0,0]
	v_pk_fma_f32 v[148:149], v[84:85], s[28:29], v[146:147] op_sel_hi:[1,0,1]
	v_pk_fma_f32 v[146:147], v[84:85], s[28:29], v[146:147] op_sel_hi:[1,0,1] neg_lo:[0,0,1] neg_hi:[0,0,1]
	;; [unrolled: 6-line block ×3, first 2 shown]
	v_mov_b32_e32 v154, v152
	v_mov_b32_e32 v155, v151
	v_pk_mul_f32 v[90:91], v[90:91], s[20:21] op_sel:[1,0] op_sel_hi:[0,0]
	v_pk_add_f32 v[136:137], v[154:155], v[136:137]
	v_pk_fma_f32 v[154:155], v[86:87], s[18:19], v[90:91] op_sel_hi:[1,0,1]
	v_pk_fma_f32 v[86:87], v[86:87], s[18:19], v[90:91] op_sel_hi:[1,0,1] neg_lo:[0,0,1] neg_hi:[0,0,1]
	v_pk_mul_f32 v[76:77], v[76:77], s[24:25] op_sel:[1,0] op_sel_hi:[0,0]
	v_mov_b32_e32 v90, v154
	v_mov_b32_e32 v91, v87
	v_pk_fma_f32 v[156:157], v[70:71], s[22:23], v[76:77] op_sel_hi:[1,0,1]
	v_pk_fma_f32 v[70:71], v[70:71], s[22:23], v[76:77] op_sel_hi:[1,0,1] neg_lo:[0,0,1] neg_hi:[0,0,1]
	v_pk_add_f32 v[90:91], v[68:69], v[90:91]
	v_mov_b32_e32 v76, v156
	v_mov_b32_e32 v77, v71
	v_pk_mul_f32 v[82:83], v[82:83], s[26:27] op_sel:[1,0] op_sel_hi:[0,0]
	v_pk_add_f32 v[76:77], v[76:77], v[90:91]
	v_pk_fma_f32 v[90:91], v[80:81], s[16:17], v[82:83] op_sel_hi:[1,0,1]
	v_pk_fma_f32 v[80:81], v[80:81], s[16:17], v[82:83] op_sel_hi:[1,0,1] neg_lo:[0,0,1] neg_hi:[0,0,1]
	v_mov_b32_e32 v82, v90
	v_mov_b32_e32 v83, v81
	;; [unrolled: 1-line block ×3, first 2 shown]
	v_pk_add_f32 v[76:77], v[82:83], v[76:77]
	v_pk_mul_f32 v[82:83], v[94:95], s[40:41] op_sel:[1,0] op_sel_hi:[0,0]
	v_pk_add_f32 v[86:87], v[68:69], v[86:87]
	v_mov_b32_e32 v71, v157
	v_pk_fma_f32 v[94:95], v[84:85], s[0:1], v[82:83] op_sel_hi:[1,0,1]
	v_pk_fma_f32 v[82:83], v[84:85], s[0:1], v[82:83] op_sel_hi:[1,0,1] neg_lo:[0,0,1] neg_hi:[0,0,1]
	v_pk_add_f32 v[70:71], v[70:71], v[86:87]
	v_mov_b32_e32 v81, v91
	v_mov_b32_e32 v129, v131
	;; [unrolled: 1-line block ×5, first 2 shown]
	v_pk_add_f32 v[70:71], v[80:81], v[70:71]
	v_pk_add_f32 v[80:81], v[68:69], v[128:129]
	v_mov_b32_e32 v139, v141
	v_pk_add_f32 v[68:69], v[68:69], v[96:97]
	v_mov_b32_e32 v107, v109
	v_pk_add_f32 v[76:77], v[84:85], v[76:77]
	v_pk_mul_f32 v[84:85], v[134:135], s[30:31] op_sel:[1,0] op_sel_hi:[0,0]
	v_pk_add_f32 v[80:81], v[138:139], v[80:81]
	v_mov_b32_e32 v143, v145
	v_pk_add_f32 v[68:69], v[106:107], v[68:69]
	v_mov_b32_e32 v111, v113
	v_pk_fma_f32 v[134:135], v[132:133], s[28:29], v[84:85] op_sel_hi:[1,0,1]
	v_pk_fma_f32 v[84:85], v[132:133], s[28:29], v[84:85] op_sel_hi:[1,0,1] neg_lo:[0,0,1] neg_hi:[0,0,1]
	v_mov_b32_e32 v83, v95
	v_pk_add_f32 v[80:81], v[142:143], v[80:81]
	v_mov_b32_e32 v147, v149
	v_pk_add_f32 v[68:69], v[110:111], v[68:69]
	v_mov_b32_e32 v115, v117
	v_mov_b32_e32 v133, v85
	v_pk_add_f32 v[70:71], v[82:83], v[70:71]
	v_mov_b32_e32 v85, v135
	v_pk_add_f32 v[80:81], v[146:147], v[80:81]
	;; [unrolled: 2-line block ×3, first 2 shown]
	v_mov_b32_e32 v119, v123
	v_mov_b32_e32 v132, v134
	v_pk_add_f32 v[70:71], v[84:85], v[70:71]
	v_pk_add_f32 v[80:81], v[150:151], v[80:81]
	;; [unrolled: 1-line block ×3, first 2 shown]
	s_movk_i32 s0, 0x3000
	v_pk_add_f32 v[76:77], v[132:133], v[76:77]
	ds_write2_b64 v74, v[70:71], v[80:81] offset0:44 offset1:226
	ds_write2_b64 v101, v[68:69], v[98:99] offset0:24 offset1:206
	;; [unrolled: 1-line block ×4, first 2 shown]
	ds_write_b64 v92, v[126:127] offset:14560
	v_add_co_u32_e32 v68, vcc, s0, v72
	s_waitcnt lgkmcnt(0)
	s_nop 0
	v_addc_co_u32_e32 v69, vcc, 0, v73, vcc
	s_barrier
	global_load_dwordx2 v[76:77], v[68:69], off offset:3728
	s_movk_i32 s16, 0x5000
	v_add_co_u32_e32 v70, vcc, s16, v72
	s_mov_b64 s[0:1], 0x3e90
	s_nop 0
	v_addc_co_u32_e32 v71, vcc, 0, v73, vcc
	global_load_dwordx2 v[80:81], v[70:71], off offset:3544
	v_lshl_add_u64 v[68:69], v[72:73], 0, s[0:1]
	global_load_dwordx2 v[82:83], v[68:69], off offset:1456
	s_movk_i32 s0, 0x6000
	v_add_co_u32_e32 v78, vcc, s0, v72
	s_movk_i32 s0, 0x4000
	s_nop 0
	v_addc_co_u32_e32 v79, vcc, 0, v73, vcc
	global_load_dwordx2 v[84:85], v[78:79], off offset:904
	global_load_dwordx2 v[86:87], v[70:71], off offset:1360
	global_load_dwordx2 v[90:91], v[68:69], off offset:2912
	global_load_dwordx2 v[94:95], v[78:79], off offset:2360
	v_add_co_u32_e32 v70, vcc, s0, v72
	s_nop 1
	v_addc_co_u32_e32 v71, vcc, 0, v73, vcc
	global_load_dwordx2 v[96:97], v[70:71], off offset:4000
	global_load_dwordx2 v[98:99], v[78:79], off offset:3816
	v_add_co_u32_e32 v70, vcc, 0x7000, v72
	s_nop 1
	v_addc_co_u32_e32 v71, vcc, 0, v73, vcc
	global_load_dwordx2 v[102:103], v[70:71], off offset:1176
	ds_read2_b64 v[70:73], v92 offset1:182
	s_waitcnt vmcnt(9) lgkmcnt(0)
	v_mul_f32_e32 v75, v71, v77
	v_mul_f32_e32 v79, v70, v77
	v_fma_f32 v78, v70, v76, -v75
	v_fmac_f32_e32 v79, v71, v76
	ds_write_b64 v92, v[78:79]
	v_add_u32_e32 v70, 0x1e00, v92
	ds_read2_b64 v[76:79], v70 offset0:41 offset1:223
	v_add_u32_e32 v75, 0x2a00, v92
	s_waitcnt vmcnt(7)
	v_mul_f32_e32 v107, v72, v83
	v_fmac_f32_e32 v107, v73, v82
	s_waitcnt lgkmcnt(0)
	v_mul_f32_e32 v71, v77, v81
	v_fma_f32 v104, v76, v80, -v71
	v_mul_f32_e32 v105, v76, v81
	v_mul_f32_e32 v71, v73, v83
	v_fmac_f32_e32 v105, v77, v80
	v_fma_f32 v106, v72, v82, -v71
	ds_read2_b64 v[80:83], v74 offset0:44 offset1:226
	s_waitcnt vmcnt(6)
	v_mul_f32_e32 v71, v79, v85
	v_mul_f32_e32 v73, v78, v85
	v_fma_f32 v72, v78, v84, -v71
	v_fmac_f32_e32 v73, v79, v84
	ds_read2_b64 v[76:79], v75 offset0:21 offset1:203
	ds_write2_b64 v70, v[104:105], v[72:73] offset0:41 offset1:223
	s_waitcnt vmcnt(4) lgkmcnt(2)
	v_mul_f32_e32 v71, v81, v91
	v_mul_f32_e32 v73, v80, v91
	v_fma_f32 v72, v80, v90, -v71
	v_fmac_f32_e32 v73, v81, v90
	v_add_u32_e32 v71, 0x400, v92
	ds_write2_b64 v71, v[106:107], v[72:73] offset0:54 offset1:236
	s_waitcnt vmcnt(3) lgkmcnt(2)
	v_mul_f32_e32 v71, v77, v95
	v_mul_f32_e32 v73, v76, v95
	v_fma_f32 v72, v76, v94, -v71
	v_fmac_f32_e32 v73, v77, v94
	s_waitcnt vmcnt(2)
	v_mul_f32_e32 v71, v83, v97
	v_mul_f32_e32 v77, v82, v97
	v_fma_f32 v76, v82, v96, -v71
	v_fmac_f32_e32 v77, v83, v96
	s_waitcnt vmcnt(1)
	v_mul_f32_e32 v71, v79, v99
	ds_read_b64 v[82:83], v92 offset:5824
	v_mul_f32_e32 v81, v78, v99
	v_fma_f32 v80, v78, v98, -v71
	v_fmac_f32_e32 v81, v79, v98
	ds_write2_b64 v75, v[72:73], v[80:81] offset0:21 offset1:203
	ds_read_b64 v[72:73], v92 offset:13832
	s_waitcnt lgkmcnt(2)
	v_mul_f32_e32 v71, v83, v87
	v_mul_f32_e32 v79, v82, v87
	v_fma_f32 v78, v82, v86, -v71
	v_fmac_f32_e32 v79, v83, v86
	v_add_u32_e32 v71, 0x1000, v92
	ds_write2_b64 v71, v[76:77], v[78:79] offset0:34 offset1:216
	s_waitcnt vmcnt(0) lgkmcnt(1)
	v_mul_f32_e32 v71, v73, v103
	v_mul_f32_e32 v77, v72, v103
	v_fma_f32 v76, v72, v102, -v71
	v_fmac_f32_e32 v77, v73, v102
	ds_write_b64 v92, v[76:77] offset:13832
	s_and_saveexec_b64 s[0:1], s[8:9]
	s_cbranch_execz .LBB0_17
; %bb.16:
	v_add_co_u32_e32 v72, vcc, 0x1000, v68
	s_nop 1
	v_addc_co_u32_e32 v73, vcc, 0, v69, vcc
	v_add_co_u32_e32 v68, vcc, 0x3000, v68
	global_load_dwordx2 v[72:73], v[72:73], off offset:3184
	s_nop 0
	v_addc_co_u32_e32 v69, vcc, 0, v69, vcc
	global_load_dwordx2 v[68:69], v[68:69], off offset:3000
	ds_read_b64 v[76:77], v92 offset:7280
	ds_read_b64 v[78:79], v92 offset:15288
	s_waitcnt vmcnt(1) lgkmcnt(1)
	v_mul_f32_e32 v71, v77, v73
	v_mul_f32_e32 v81, v76, v73
	v_fma_f32 v80, v76, v72, -v71
	s_waitcnt vmcnt(0) lgkmcnt(0)
	v_mul_f32_e32 v71, v79, v69
	v_mul_f32_e32 v73, v78, v69
	v_fmac_f32_e32 v81, v77, v72
	v_fma_f32 v72, v78, v68, -v71
	v_fmac_f32_e32 v73, v79, v68
	ds_write_b64 v92, v[80:81] offset:7280
	ds_write_b64 v92, v[72:73] offset:15288
.LBB0_17:
	s_or_b64 exec, exec, s[0:1]
	s_waitcnt lgkmcnt(0)
	s_barrier
	ds_read2_b64 v[78:81], v92 offset1:182
	ds_read2_b64 v[70:73], v70 offset0:41 offset1:223
	ds_read2_b64 v[84:87], v74 offset0:44 offset1:226
	ds_read2_b64 v[74:77], v75 offset0:21 offset1:203
	ds_read_b64 v[90:91], v92 offset:5824
	ds_read_b64 v[94:95], v92 offset:13832
	v_add_u32_e32 v98, 0x16c0, v215
	v_add_u32_e32 v97, 0x2220, v215
	;; [unrolled: 1-line block ×3, first 2 shown]
	s_and_saveexec_b64 s[0:1], s[8:9]
	s_cbranch_execz .LBB0_19
; %bb.18:
	ds_read_b64 v[126:127], v92 offset:7280
	ds_read_b64 v[88:89], v92 offset:15288
.LBB0_19:
	s_or_b64 exec, exec, s[0:1]
	s_waitcnt lgkmcnt(4)
	v_pk_add_f32 v[70:71], v[78:79], v[70:71] neg_lo:[0,1] neg_hi:[0,1]
	s_waitcnt lgkmcnt(2)
	v_pk_add_f32 v[74:75], v[84:85], v[74:75] neg_lo:[0,1] neg_hi:[0,1]
	v_pk_fma_f32 v[68:69], v[78:79], 2.0, v[70:71] op_sel_hi:[1,0,1] neg_lo:[0,0,1] neg_hi:[0,0,1]
	v_pk_add_f32 v[78:79], v[86:87], v[76:77] neg_lo:[0,1] neg_hi:[0,1]
	v_pk_add_f32 v[82:83], v[80:81], v[72:73] neg_lo:[0,1] neg_hi:[0,1]
	v_pk_fma_f32 v[76:77], v[86:87], 2.0, v[78:79] op_sel_hi:[1,0,1] neg_lo:[0,0,1] neg_hi:[0,0,1]
	s_waitcnt lgkmcnt(0)
	v_pk_add_f32 v[86:87], v[90:91], v[94:95] neg_lo:[0,1] neg_hi:[0,1]
	v_pk_fma_f32 v[72:73], v[84:85], 2.0, v[74:75] op_sel_hi:[1,0,1] neg_lo:[0,0,1] neg_hi:[0,0,1]
	v_pk_fma_f32 v[84:85], v[90:91], 2.0, v[86:87] op_sel_hi:[1,0,1] neg_lo:[0,0,1] neg_hi:[0,0,1]
	v_pk_add_f32 v[90:91], v[126:127], v[88:89] neg_lo:[0,1] neg_hi:[0,1]
	v_pk_fma_f32 v[80:81], v[80:81], 2.0, v[82:83] op_sel_hi:[1,0,1] neg_lo:[0,0,1] neg_hi:[0,0,1]
	v_pk_fma_f32 v[88:89], v[126:127], 2.0, v[90:91] op_sel_hi:[1,0,1] neg_lo:[0,0,1] neg_hi:[0,0,1]
	s_barrier
	ds_write_b128 v213, v[68:71]
	ds_write_b128 v214, v[80:83]
	;; [unrolled: 1-line block ×5, first 2 shown]
	s_and_saveexec_b64 s[0:1], s[8:9]
	s_cbranch_execz .LBB0_21
; %bb.20:
	ds_write_b128 v212, v[88:91]
.LBB0_21:
	s_or_b64 exec, exec, s[0:1]
	s_waitcnt lgkmcnt(0)
	s_barrier
	s_and_saveexec_b64 s[0:1], s[2:3]
	s_cbranch_execz .LBB0_23
; %bb.22:
	v_add_u32_e32 v72, 0x800, v92
	ds_read2_b64 v[80:83], v72 offset0:52 offset1:206
	v_add_u32_e32 v72, 0x1200, v92
	v_add_u32_e32 v76, 0x1c00, v92
	;; [unrolled: 1-line block ×4, first 2 shown]
	ds_read2_b64 v[68:71], v92 offset1:154
	ds_read2_b64 v[72:75], v72 offset0:40 offset1:194
	ds_read2_b64 v[76:79], v76 offset0:28 offset1:182
	;; [unrolled: 1-line block ×4, first 2 shown]
	ds_read_b64 v[124:125], v92 offset:14784
.LBB0_23:
	s_or_b64 exec, exec, s[0:1]
	s_waitcnt lgkmcnt(5)
	v_pk_mul_f32 v[94:95], v[60:61], v[70:71]
	v_mov_b32_e32 v96, v61
	v_mov_b32_e32 v94, v95
	v_pk_fma_f32 v[100:101], v[60:61], v[70:71], v[94:95]
	v_mov_b32_e32 v94, v71
	v_pk_mul_f32 v[70:71], v[96:97], v[70:71]
	s_mov_b32 s24, 0xbf6f5d39
	v_pk_fma_f32 v[106:107], v[60:61], v[94:95], v[70:71] neg_lo:[0,0,1] neg_hi:[0,0,1]
	v_pk_mul_f32 v[60:61], v[62:63], v[80:81]
	v_mov_b32_e32 v94, v63
	v_mov_b32_e32 v60, v61
	v_pk_fma_f32 v[60:61], v[62:63], v[80:81], v[60:61]
	v_mov_b32_e32 v70, v81
	v_pk_mul_f32 v[80:81], v[94:95], v[80:81]
	s_waitcnt lgkmcnt(2)
	v_pk_mul_f32 v[94:95], v[46:47], v[84:85] op_sel:[0,1]
	v_pk_fma_f32 v[108:109], v[62:63], v[70:71], v[80:81] neg_lo:[0,0,1] neg_hi:[0,0,1]
	v_pk_mul_f32 v[62:63], v[52:53], v[82:83]
	v_mov_b32_e32 v80, v53
	v_mov_b32_e32 v62, v63
	v_mov_b32_e32 v70, v83
	v_pk_mul_f32 v[80:81], v[80:81], v[82:83]
	v_pk_fma_f32 v[62:63], v[52:53], v[82:83], v[62:63]
	v_pk_fma_f32 v[110:111], v[52:53], v[70:71], v[80:81] neg_lo:[0,0,1] neg_hi:[0,0,1]
	v_pk_mul_f32 v[52:53], v[54:55], v[72:73] op_sel:[0,1]
	v_pk_mul_f32 v[70:71], v[48:49], v[74:75] op_sel:[0,1]
	;; [unrolled: 1-line block ×4, first 2 shown]
	v_pk_fma_f32 v[128:129], v[54:55], v[72:73], v[52:53] op_sel:[0,0,1] op_sel_hi:[1,0,0]
	v_pk_fma_f32 v[166:167], v[54:55], v[72:73], v[52:53] op_sel:[0,0,1] op_sel_hi:[1,0,0] neg_lo:[1,0,0] neg_hi:[1,0,0]
	v_pk_fma_f32 v[72:73], v[48:49], v[74:75], v[70:71] op_sel:[0,0,1] op_sel_hi:[1,0,0]
	v_pk_fma_f32 v[48:49], v[48:49], v[74:75], v[70:71] op_sel:[0,0,1] op_sel_hi:[1,0,0] neg_lo:[1,0,0] neg_hi:[1,0,0]
	;; [unrolled: 2-line block ×5, first 2 shown]
	v_pk_add_f32 v[144:145], v[72:73], v[78:79]
	v_pk_add_f32 v[44:45], v[72:73], v[78:79] neg_lo:[0,1] neg_hi:[0,1]
	v_pk_add_f32 v[50:51], v[48:49], v[152:153]
	v_mov_b32_e32 v145, v44
	v_pk_add_f32 v[44:45], v[48:49], v[152:153] neg_lo:[0,1] neg_hi:[0,1]
	s_mov_b32 s25, 0xbeb58ec6
	v_mov_b32_e32 v50, v45
	v_pk_mul_f32 v[46:47], v[50:51], s[24:25]
	v_pk_mul_f32 v[96:97], v[56:57], v[86:87] op_sel:[0,1]
	s_waitcnt lgkmcnt(0)
	v_mov_b32_e32 v104, v125
	s_mov_b32 s0, s25
	s_mov_b32 s1, s24
	v_accvgpr_write_b32 a30, v46
	v_pk_mul_f32 v[98:99], v[58:59], v[88:89] op_sel:[0,1]
	v_pk_mul_f32 v[102:103], v[64:65], v[90:91] op_sel:[0,1]
	v_pk_mul_f32 v[104:105], v[66:67], v[104:105] op_sel_hi:[1,0]
	v_pk_fma_f32 v[84:85], v[56:57], v[86:87], v[96:97] op_sel:[0,0,1] op_sel_hi:[1,0,0]
	v_pk_fma_f32 v[176:177], v[56:57], v[86:87], v[96:97] op_sel:[0,0,1] op_sel_hi:[1,0,0] neg_lo:[1,0,0] neg_hi:[1,0,0]
	v_pk_fma_f32 v[44:45], v[144:145], s[0:1], v[46:47] neg_lo:[0,0,1] neg_hi:[0,0,1]
	v_accvgpr_write_b32 a31, v47
	v_pk_fma_f32 v[56:57], v[144:145], s[0:1], v[46:47]
	v_pk_add_f32 v[146:147], v[74:75], v[76:77]
	v_pk_add_f32 v[46:47], v[74:75], v[76:77] neg_lo:[0,1] neg_hi:[0,1]
	v_pk_fma_f32 v[86:87], v[58:59], v[88:89], v[98:99] op_sel:[0,0,1] op_sel_hi:[1,0,0]
	v_pk_fma_f32 v[174:175], v[58:59], v[88:89], v[98:99] op_sel:[0,0,1] op_sel_hi:[1,0,0] neg_lo:[1,0,0] neg_hi:[1,0,0]
	v_pk_fma_f32 v[88:89], v[64:65], v[90:91], v[102:103] op_sel:[0,0,1] op_sel_hi:[1,0,0]
	v_pk_fma_f32 v[170:171], v[64:65], v[90:91], v[102:103] op_sel:[0,0,1] op_sel_hi:[1,0,0] neg_lo:[1,0,0] neg_hi:[1,0,0]
	v_pk_fma_f32 v[90:91], v[66:67], v[124:125], v[104:105] op_sel:[0,0,1] op_sel_hi:[1,0,0]
	v_mov_b32_e32 v73, v49
	v_mov_b32_e32 v147, v46
	v_pk_add_f32 v[46:47], v[150:151], v[158:159] neg_lo:[0,1] neg_hi:[0,1]
	v_pk_add_f32 v[48:49], v[150:151], v[158:159]
	v_pk_fma_f32 v[168:169], v[66:67], v[124:125], v[104:105] op_sel:[0,0,1] op_sel_hi:[1,0,0] neg_lo:[1,0,0] neg_hi:[1,0,0]
	v_mov_b32_e32 v48, v47
	v_pk_add_f32 v[160:161], v[100:101], v[90:91]
	v_pk_add_f32 v[46:47], v[100:101], v[90:91] neg_lo:[0,1] neg_hi:[0,1]
	v_pk_add_f32 v[52:53], v[106:107], v[168:169] op_sel:[0,1] neg_lo:[0,1] neg_hi:[0,1]
	v_mov_b32_e32 v161, v46
	v_pk_add_f32 v[46:47], v[106:107], v[168:169] op_sel_hi:[0,1]
	v_mov_b32_e32 v53, v47
	s_mov_b32 s37, 0x3f62ad3f
	s_mov_b32 s36, 0xbeedf032
	v_pk_mul_f32 v[54:55], v[52:53], s[36:37]
	s_mov_b32 s26, s37
	s_mov_b32 s27, s36
	v_accvgpr_write_b32 a38, v54
	v_pk_fma_f32 v[46:47], v[160:161], s[26:27], v[54:55] neg_lo:[0,0,1] neg_hi:[0,0,1]
	v_accvgpr_write_b32 a39, v55
	v_pk_fma_f32 v[124:125], v[160:161], s[26:27], v[54:55]
	v_pk_add_f32 v[172:173], v[60:61], v[88:89]
	v_pk_add_f32 v[54:55], v[60:61], v[88:89] neg_lo:[0,1] neg_hi:[0,1]
	v_pk_add_f32 v[58:59], v[108:109], v[170:171] op_sel_hi:[0,1]
	v_mov_b32_e32 v173, v54
	v_pk_add_f32 v[54:55], v[108:109], v[170:171] op_sel:[0,1] neg_lo:[0,1] neg_hi:[0,1]
	s_mov_b32 s42, 0xbf52af12
	v_pk_add_f32 v[190:191], v[62:63], v[86:87]
	v_pk_add_f32 v[82:83], v[62:63], v[86:87] neg_lo:[0,1] neg_hi:[0,1]
	v_mov_b32_e32 v55, v59
	s_mov_b32 s43, 0x3f116cb1
	v_mov_b32_e32 v191, v82
	v_pk_add_f32 v[82:83], v[110:111], v[174:175] op_sel:[0,1] neg_lo:[0,1] neg_hi:[0,1]
	v_pk_add_f32 v[94:95], v[110:111], v[174:175] op_sel_hi:[0,1]
	s_mov_b32 s50, 0xbf7e222b
	v_pk_mul_f32 v[64:65], v[54:55], s[42:43]
	s_mov_b32 s16, s43
	s_mov_b32 s17, s42
	v_mov_b32_e32 v83, v95
	s_mov_b32 s51, 0x3df6dbef
	v_mov_b32_e32 v47, v125
	v_pk_fma_f32 v[58:59], v[172:173], s[16:17], v[64:65] neg_lo:[0,0,1] neg_hi:[0,0,1]
	v_pk_fma_f32 v[140:141], v[172:173], s[16:17], v[64:65]
	s_mov_b32 s41, 0xbf788fa5
	s_mov_b32 s40, 0xbe750f2a
	v_pk_mul_f32 v[154:155], v[82:83], s[50:51]
	s_mov_b32 s20, s51
	s_mov_b32 s21, s50
	v_pk_add_f32 v[46:47], v[68:69], v[46:47]
	v_mov_b32_e32 v59, v141
	v_pk_mul_f32 v[216:217], v[52:53], s[40:41]
	s_mov_b32 s22, s41
	s_mov_b32 s23, s40
	;; [unrolled: 1-line block ×3, first 2 shown]
	v_pk_fma_f32 v[94:95], v[190:191], s[20:21], v[154:155] neg_lo:[0,0,1] neg_hi:[0,0,1]
	v_pk_fma_f32 v[156:157], v[190:191], s[20:21], v[154:155]
	v_accvgpr_write_b32 a44, v64
	v_pk_add_f32 v[46:47], v[58:59], v[46:47]
	v_pk_fma_f32 v[70:71], v[160:161], s[22:23], v[216:217] neg_lo:[0,0,1] neg_hi:[0,0,1]
	v_pk_fma_f32 v[58:59], v[160:161], s[22:23], v[216:217]
	v_pk_mul_f32 v[218:219], v[54:55], s[36:37]
	s_mov_b32 s18, s37
	s_mov_b32 s19, s36
	v_mov_b32_e32 v95, v157
	s_mov_b32 s52, 0xbf29c268
	v_accvgpr_write_b32 a45, v65
	v_pk_fma_f32 v[80:81], v[172:173], s[18:19], v[218:219] neg_lo:[0,0,1] neg_hi:[0,0,1]
	v_pk_fma_f32 v[64:65], v[172:173], s[18:19], v[218:219]
	v_pk_add_f32 v[46:47], v[94:95], v[46:47]
	v_pk_add_f32 v[94:95], v[128:129], v[84:85] neg_lo:[0,1] neg_hi:[0,1]
	v_mov_b32_e32 v71, v59
	s_mov_b32 s53, 0xbf3f9e67
	v_mov_b32_e32 v227, v94
	v_pk_add_f32 v[94:95], v[166:167], v[176:177] neg_lo:[0,1] neg_hi:[0,1]
	v_pk_add_f32 v[102:103], v[166:167], v[176:177]
	v_pk_add_f32 v[70:71], v[68:69], v[70:71]
	v_mov_b32_e32 v81, v65
	v_pk_mul_f32 v[66:67], v[82:83], s[52:53]
	s_mov_b32 s28, s53
	s_mov_b32 s29, s52
	v_pk_add_f32 v[98:99], v[128:129], v[84:85]
	v_mov_b32_e32 v102, v95
	v_pk_add_f32 v[70:71], v[80:81], v[70:71]
	v_pk_fma_f32 v[80:81], v[190:191], s[28:29], v[66:67] neg_lo:[0,0,1] neg_hi:[0,0,1]
	v_accvgpr_write_b32 a40, v66
	v_pk_fma_f32 v[132:133], v[190:191], s[28:29], v[66:67]
	s_mov_b32 s54, 0x3f52af12
	s_mov_b32 s55, s43
	v_mov_b32_e32 v226, v98
	v_accvgpr_write_b32 a41, v67
	v_mov_b32_e32 v81, v133
	v_pk_mul_f32 v[66:67], v[102:103], s[54:55]
	s_mov_b32 s30, s43
	s_mov_b32 s31, s54
	v_pk_mul_f32 v[164:165], v[102:103], s[24:25]
	v_pk_add_f32 v[70:71], v[80:81], v[70:71]
	v_pk_fma_f32 v[80:81], v[226:227], s[30:31], v[66:67] neg_lo:[0,0,1] neg_hi:[0,0,1]
	v_pk_fma_f32 v[136:137], v[226:227], s[30:31], v[66:67]
	v_pk_fma_f32 v[94:95], v[226:227], s[0:1], v[164:165] neg_lo:[0,0,1] neg_hi:[0,0,1]
	v_pk_fma_f32 v[162:163], v[226:227], s[0:1], v[164:165]
	v_mov_b32_e32 v81, v137
	v_pk_mul_f32 v[184:185], v[50:51], s[52:53]
	v_mov_b32_e32 v45, v57
	v_accvgpr_write_b32 a32, v100
	v_mov_b32_e32 v95, v163
	v_pk_add_f32 v[70:71], v[80:81], v[70:71]
	v_pk_fma_f32 v[80:81], v[144:145], s[28:29], v[184:185] neg_lo:[0,0,1] neg_hi:[0,0,1]
	v_pk_fma_f32 v[182:183], v[144:145], s[28:29], v[184:185]
	v_pk_mul_f32 v[194:195], v[52:53], s[42:43]
	v_accvgpr_write_b32 a33, v101
	v_pk_add_f32 v[46:47], v[94:95], v[46:47]
	v_mov_b32_e32 v81, v183
	v_pk_add_f32 v[100:101], v[44:45], v[70:71]
	v_pk_fma_f32 v[70:71], v[160:161], s[16:17], v[194:195] neg_lo:[0,0,1] neg_hi:[0,0,1]
	v_pk_fma_f32 v[192:193], v[160:161], s[16:17], v[194:195]
	v_pk_mul_f32 v[198:199], v[54:55], s[24:25]
	v_pk_add_f32 v[46:47], v[80:81], v[46:47]
	v_mov_b32_e32 v71, v193
	v_pk_fma_f32 v[80:81], v[172:173], s[0:1], v[198:199] neg_lo:[0,0,1] neg_hi:[0,0,1]
	v_pk_fma_f32 v[196:197], v[172:173], s[0:1], v[198:199]
	v_pk_add_f32 v[70:71], v[68:69], v[70:71]
	v_mov_b32_e32 v81, v197
	v_pk_mul_f32 v[202:203], v[82:83], s[40:41]
	v_pk_mul_f32 v[188:189], v[48:49], s[40:41]
	v_pk_add_f32 v[70:71], v[80:81], v[70:71]
	v_pk_fma_f32 v[80:81], v[190:191], s[22:23], v[202:203] neg_lo:[0,0,1] neg_hi:[0,0,1]
	v_pk_fma_f32 v[200:201], v[190:191], s[22:23], v[202:203]
	s_mov_b32 s56, 0x3f29c268
	s_mov_b32 s57, s53
	v_pk_fma_f32 v[44:45], v[146:147], s[22:23], v[188:189] neg_lo:[0,0,1] neg_hi:[0,0,1]
	v_pk_fma_f32 v[186:187], v[146:147], s[22:23], v[188:189]
	s_mov_b32 s48, 0x3f7e222b
	s_mov_b32 s49, s51
	v_mov_b32_e32 v81, v201
	v_pk_mul_f32 v[204:205], v[102:103], s[56:57]
	s_mov_b32 s38, s53
	s_mov_b32 s39, s56
	v_mov_b32_e32 v45, v187
	v_pk_mul_f32 v[178:179], v[50:51], s[48:49]
	s_mov_b32 s34, s51
	s_mov_b32 s35, s48
	v_pk_add_f32 v[70:71], v[80:81], v[70:71]
	v_pk_fma_f32 v[80:81], v[226:227], s[38:39], v[204:205] neg_lo:[0,0,1] neg_hi:[0,0,1]
	v_pk_fma_f32 v[210:211], v[226:227], s[38:39], v[204:205]
	v_pk_add_f32 v[44:45], v[44:45], v[46:47]
	v_pk_fma_f32 v[46:47], v[144:145], s[34:35], v[178:179] neg_lo:[0,0,1] neg_hi:[0,0,1]
	v_pk_fma_f32 v[180:181], v[144:145], s[34:35], v[178:179]
	v_mov_b32_e32 v81, v211
	v_mov_b32_e32 v47, v181
	v_pk_add_f32 v[70:71], v[80:81], v[70:71]
	v_pk_mul_f32 v[208:209], v[48:49], s[36:37]
	v_accvgpr_write_b32 a42, v66
	v_pk_add_f32 v[46:47], v[46:47], v[70:71]
	v_pk_fma_f32 v[70:71], v[146:147], s[18:19], v[208:209] neg_lo:[0,0,1] neg_hi:[0,0,1]
	v_pk_fma_f32 v[206:207], v[146:147], s[18:19], v[208:209]
	v_pk_mul_f32 v[234:235], v[52:53], s[24:25]
	v_accvgpr_write_b32 a43, v67
	v_mov_b32_e32 v71, v207
	v_pk_fma_f32 v[66:67], v[160:161], s[0:1], v[234:235] neg_lo:[0,0,1] neg_hi:[0,0,1]
	v_pk_fma_f32 v[232:233], v[160:161], s[0:1], v[234:235]
	v_pk_mul_f32 v[238:239], v[54:55], s[56:57]
	v_pk_add_f32 v[46:47], v[70:71], v[46:47]
	v_mov_b32_e32 v67, v233
	v_pk_fma_f32 v[70:71], v[172:173], s[38:39], v[238:239] neg_lo:[0,0,1] neg_hi:[0,0,1]
	v_pk_fma_f32 v[236:237], v[172:173], s[38:39], v[238:239]
	v_pk_add_f32 v[66:67], v[68:69], v[66:67]
	v_mov_b32_e32 v71, v237
	v_pk_mul_f32 v[242:243], v[82:83], s[36:37]
	v_pk_add_f32 v[66:67], v[70:71], v[66:67]
	v_pk_fma_f32 v[70:71], v[190:191], s[18:19], v[242:243] neg_lo:[0,0,1] neg_hi:[0,0,1]
	v_pk_fma_f32 v[240:241], v[190:191], s[18:19], v[242:243]
	v_pk_mul_f32 v[252:253], v[102:103], s[50:51]
	v_mov_b32_e32 v71, v241
	v_pk_mul_f32 v[112:113], v[54:55], s[40:41]
	s_mov_b32 s46, 0x3f6f5d39
	s_mov_b32 s47, s25
	;; [unrolled: 1-line block ×3, first 2 shown]
	v_pk_add_f32 v[66:67], v[70:71], v[66:67]
	v_pk_fma_f32 v[70:71], v[226:227], s[20:21], v[252:253] neg_lo:[0,0,1] neg_hi:[0,0,1]
	v_pk_fma_f32 v[248:249], v[226:227], s[20:21], v[252:253]
	v_accvgpr_write_b32 a36, v110
	v_accvgpr_write_b32 a46, v46
	v_pk_mul_f32 v[110:111], v[52:53], s[50:51]
	v_pk_mul_f32 v[116:117], v[82:83], s[46:47]
	s_mov_b32 s45, s46
	v_pk_mul_f32 v[214:215], v[50:51], s[40:41]
	s_mov_b32 s46, s41
	s_mov_b32 s47, s40
	v_mov_b32_e32 v71, v249
	v_pk_mul_f32 v[80:81], v[52:53], s[52:53]
	v_accvgpr_write_b32 a47, v47
	v_pk_fma_f32 v[222:223], v[160:161], s[20:21], v[110:111]
	v_pk_fma_f32 v[46:47], v[144:145], s[46:47], v[214:215] neg_lo:[0,0,1] neg_hi:[0,0,1]
	v_pk_fma_f32 v[220:221], v[144:145], s[46:47], v[214:215]
	v_pk_add_f32 v[66:67], v[70:71], v[66:67]
	v_pk_fma_f32 v[52:53], v[160:161], s[28:29], v[80:81] neg_lo:[0,0,1] neg_hi:[0,0,1]
	v_pk_mul_f32 v[70:71], v[54:55], s[48:49]
	v_accvgpr_write_b32 a34, v108
	v_pk_fma_f32 v[148:149], v[172:173], s[22:23], v[112:113]
	s_mov_b32 s44, s25
	v_mov_b32_e32 v47, v221
	v_pk_mul_f32 v[246:247], v[48:49], s[54:55]
	v_pk_fma_f32 v[224:225], v[172:173], s[34:35], v[70:71] neg_lo:[0,0,1] neg_hi:[0,0,1]
	v_pk_mul_f32 v[108:109], v[82:83], s[42:43]
	v_mov_b32_e32 v53, v223
	v_pk_fma_f32 v[228:229], v[190:191], s[44:45], v[116:117]
	v_pk_add_f32 v[46:47], v[46:47], v[66:67]
	v_pk_fma_f32 v[66:67], v[146:147], s[30:31], v[246:247] neg_lo:[0,0,1] neg_hi:[0,0,1]
	v_pk_fma_f32 v[244:245], v[146:147], s[30:31], v[246:247]
	v_pk_fma_f32 v[82:83], v[190:191], s[16:17], v[108:109] neg_lo:[0,0,1] neg_hi:[0,0,1]
	v_pk_add_f32 v[52:53], v[68:69], v[52:53]
	v_mov_b32_e32 v225, v149
	v_pk_mul_f32 v[104:105], v[50:51], s[42:43]
	v_mov_b32_e32 v67, v245
	v_pk_mul_f32 v[54:55], v[102:103], s[40:41]
	v_pk_add_f32 v[52:53], v[224:225], v[52:53]
	v_mov_b32_e32 v83, v229
	s_mov_b32 s42, s41
	s_mov_b32 s41, s37
	v_pk_fma_f32 v[254:255], v[160:161], s[20:21], v[110:111] neg_lo:[0,0,1] neg_hi:[0,0,1]
	v_pk_add_f32 v[46:47], v[66:67], v[46:47]
	v_pk_fma_f32 v[66:67], v[160:161], s[28:29], v[80:81]
	v_pk_add_f32 v[52:53], v[82:83], v[52:53]
	s_mov_b32 s43, s36
	v_pk_mul_f32 v[82:83], v[102:103], s[40:41]
	v_pk_fma_f32 v[122:123], v[172:173], s[22:23], v[112:113] neg_lo:[0,0,1] neg_hi:[0,0,1]
	v_pk_fma_f32 v[130:131], v[172:173], s[34:35], v[70:71]
	v_pk_fma_f32 v[98:99], v[98:99], s[42:43], v[82:83] neg_lo:[0,0,1] neg_hi:[0,0,1]
	v_pk_fma_f32 v[82:83], v[226:227], s[42:43], v[82:83]
	v_mov_b32_e32 v255, v67
	v_pk_fma_f32 v[96:97], v[190:191], s[44:45], v[116:117] neg_lo:[0,0,1] neg_hi:[0,0,1]
	v_pk_fma_f32 v[134:135], v[190:191], s[16:17], v[108:109]
	v_mov_b32_e32 v99, v83
	v_pk_add_f32 v[82:83], v[68:69], v[254:255]
	v_mov_b32_e32 v123, v131
	v_pk_mul_f32 v[118:119], v[102:103], s[36:37]
	v_pk_mul_f32 v[94:95], v[226:227], s[18:19]
	;; [unrolled: 1-line block ×3, first 2 shown]
	v_pk_add_f32 v[82:83], v[122:123], v[82:83]
	v_mov_b32_e32 v97, v135
	v_pk_add_f32 v[52:53], v[98:99], v[52:53]
	v_pk_add_f32 v[82:83], v[96:97], v[82:83]
	v_mov_b32_e32 v96, v127
	v_mov_b32_e32 v97, v94
	;; [unrolled: 1-line block ×4, first 2 shown]
	v_pk_mul_f32 v[142:143], v[50:51], s[36:37]
	v_pk_add_f32 v[102:103], v[96:97], v[98:99]
	v_pk_add_f32 v[96:97], v[96:97], v[98:99] neg_lo:[0,1] neg_hi:[0,1]
	v_accvgpr_write_b32 a28, v106
	v_pk_fma_f32 v[106:107], v[144:145], s[16:17], v[104:105] neg_lo:[0,0,1] neg_hi:[0,0,1]
	v_pk_fma_f32 v[212:213], v[144:145], s[16:17], v[104:105]
	v_pk_fma_f32 v[50:51], v[144:145], s[18:19], v[142:143] neg_lo:[0,0,1] neg_hi:[0,0,1]
	v_pk_fma_f32 v[250:251], v[144:145], s[18:19], v[142:143]
	v_mov_b32_e32 v103, v97
	v_pk_add_f32 v[82:83], v[102:103], v[82:83] op_sel:[0,1] op_sel_hi:[1,0]
	v_mov_b32_e32 v51, v213
	v_mov_b32_e32 v96, v251
	;; [unrolled: 1-line block ×3, first 2 shown]
	v_pk_mul_f32 v[114:115], v[48:49], s[52:53]
	v_pk_add_f32 v[50:51], v[50:51], v[52:53]
	v_pk_add_f32 v[52:53], v[96:97], v[82:83]
	v_pk_mul_f32 v[82:83], v[48:49], s[24:25]
	v_pk_fma_f32 v[230:231], v[146:147], s[28:29], v[114:115]
	v_pk_fma_f32 v[96:97], v[146:147], s[0:1], v[82:83] neg_lo:[0,0,1] neg_hi:[0,0,1]
	v_pk_mul_f32 v[102:103], v[48:49], s[48:49]
	v_pk_fma_f32 v[138:139], v[146:147], s[28:29], v[114:115] neg_lo:[0,0,1] neg_hi:[0,0,1]
	v_mov_b32_e32 v97, v231
	v_pk_fma_f32 v[106:107], v[146:147], s[0:1], v[82:83]
	v_pk_fma_f32 v[48:49], v[146:147], s[34:35], v[102:103] neg_lo:[0,0,1] neg_hi:[0,0,1]
	v_pk_fma_f32 v[98:99], v[146:147], s[34:35], v[102:103]
	v_pk_add_f32 v[50:51], v[96:97], v[50:51]
	v_mov_b32_e32 v96, v107
	v_mov_b32_e32 v97, v138
	;; [unrolled: 1-line block ×3, first 2 shown]
	v_pk_add_f32 v[52:53], v[96:97], v[52:53]
	v_pk_add_f32 v[254:255], v[48:49], v[100:101]
	s_barrier
	s_and_saveexec_b64 s[24:25], s[2:3]
	s_cbranch_execz .LBB0_25
; %bb.24:
	v_pk_mul_f32 v[48:49], v[144:145], s[0:1]
	v_pk_mul_f32 v[138:139], v[172:173], s[18:19]
	v_accvgpr_write_b32 a48, v48
	v_accvgpr_write_b32 a49, v49
	v_pk_mul_f32 v[48:49], v[226:227], s[0:1]
	v_pk_add_f32 v[138:139], v[218:219], v[138:139] neg_lo:[0,1] neg_hi:[0,1]
	v_accvgpr_write_b32 a59, v49
	v_accvgpr_write_b32 a58, v48
	v_pk_mul_f32 v[48:49], v[190:191], s[28:29]
	v_pk_mul_f32 v[96:97], v[160:161], s[26:27]
	v_accvgpr_write_b32 a53, v49
	v_accvgpr_write_b32 a52, v48
	v_pk_mul_f32 v[48:49], v[226:227], s[30:31]
	v_pk_mul_f32 v[122:123], v[160:161], s[22:23]
	v_accvgpr_write_b32 a51, v49
	v_accvgpr_write_b32 a50, v48
	v_pk_mul_f32 v[48:49], v[144:145], s[28:29]
	v_mov_b32_e32 v129, v167
	v_accvgpr_write_b32 a57, v49
	v_pk_mul_f32 v[166:167], v[160:161], s[16:17]
	v_mov_b32_e32 v79, v153
	v_pk_mul_f32 v[152:153], v[160:161], s[20:21]
	v_mov_b32_e32 v65, v139
	v_pk_mul_f32 v[138:139], v[160:161], s[0:1]
	v_pk_mul_f32 v[160:161], v[160:161], s[28:29]
	v_accvgpr_write_b32 a56, v48
	v_pk_mul_f32 v[48:49], v[146:147], s[22:23]
	v_pk_add_f32 v[80:81], v[80:81], v[160:161] neg_lo:[0,1] neg_hi:[0,1]
	v_pk_mul_f32 v[224:225], v[190:191], s[20:21]
	v_accvgpr_write_b32 a55, v49
	v_mov_b32_e32 v89, v171
	v_pk_mul_f32 v[170:171], v[190:191], s[22:23]
	v_pk_add_f32 v[122:123], v[216:217], v[122:123] neg_lo:[0,1] neg_hi:[0,1]
	v_pk_mul_f32 v[216:217], v[190:191], s[44:45]
	v_mov_b32_e32 v67, v81
	v_pk_mul_f32 v[80:81], v[190:191], s[18:19]
	v_pk_mul_f32 v[190:191], v[190:191], s[16:17]
	;; [unrolled: 1-line block ×3, first 2 shown]
	v_accvgpr_write_b32 a54, v48
	v_mov_b32_e32 v87, v175
	v_pk_mul_f32 v[174:175], v[172:173], s[0:1]
	v_pk_mul_f32 v[48:49], v[172:173], s[22:23]
	v_pk_mul_f32 v[160:161], v[172:173], s[38:39]
	v_pk_mul_f32 v[172:173], v[172:173], s[34:35]
	v_pk_add_f32 v[108:109], v[108:109], v[190:191] neg_lo:[0,1] neg_hi:[0,1]
	v_mov_b32_e32 v85, v177
	v_pk_mul_f32 v[176:177], v[144:145], s[34:35]
	v_mov_b32_e32 v75, v151
	v_pk_mul_f32 v[150:151], v[144:145], s[16:17]
	v_pk_mul_f32 v[218:219], v[144:145], s[46:47]
	v_pk_add_f32 v[70:71], v[70:71], v[172:173] neg_lo:[0,1] neg_hi:[0,1]
	v_pk_mul_f32 v[144:145], v[144:145], s[18:19]
	v_mov_b32_e32 v135, v109
	v_pk_add_f32 v[108:109], v[54:55], v[126:127]
	v_pk_add_f32 v[54:55], v[54:55], v[126:127] neg_lo:[0,1] neg_hi:[0,1]
	v_mov_b32_e32 v131, v71
	v_pk_mul_f32 v[70:71], v[146:147], s[0:1]
	v_mov_b32_e32 v109, v55
	v_pk_add_f32 v[54:55], v[142:143], v[144:145] neg_lo:[0,1] neg_hi:[0,1]
	v_pk_add_f32 v[48:49], v[112:113], v[48:49] neg_lo:[0,1] neg_hi:[0,1]
	v_mov_b32_e32 v251, v55
	v_pk_add_f32 v[54:55], v[82:83], v[70:71] neg_lo:[0,1] neg_hi:[0,1]
	v_mov_b32_e32 v149, v49
	v_mov_b32_e32 v107, v55
	v_pk_add_f32 v[54:55], v[110:111], v[152:153] neg_lo:[0,1] neg_hi:[0,1]
	v_pk_add_f32 v[48:49], v[116:117], v[216:217] neg_lo:[0,1] neg_hi:[0,1]
	v_mov_b32_e32 v223, v55
	v_mov_b32_e32 v229, v49
	v_pk_add_f32 v[48:49], v[118:119], v[94:95]
	v_pk_add_f32 v[54:55], v[118:119], v[94:95] neg_lo:[0,1] neg_hi:[0,1]
	v_mov_b32_e32 v59, v123
	v_pk_mul_f32 v[122:123], v[146:147], s[28:29]
	v_mov_b32_e32 v49, v55
	v_pk_add_f32 v[54:55], v[104:105], v[150:151] neg_lo:[0,1] neg_hi:[0,1]
	v_accvgpr_read_b32 v71, a33
	v_mov_b32_e32 v213, v55
	v_pk_add_f32 v[54:55], v[114:115], v[122:123] neg_lo:[0,1] neg_hi:[0,1]
	v_accvgpr_read_b32 v70, a32
	v_mov_b32_e32 v231, v55
	v_accvgpr_read_b32 v55, a28
	v_pk_add_f32 v[54:55], v[54:55], v[68:69]
	v_pk_add_f32 v[70:71], v[68:69], v[70:71]
	v_accvgpr_read_b32 v54, a27
	v_mul_u32_u24_e32 v54, 26, v54
	v_accvgpr_read_b32 v57, a7
	v_or_b32_e32 v54, v54, v57
	v_accvgpr_read_b32 v61, a34
	v_mov_b32_e32 v71, v55
	v_lshlrev_b32_e32 v82, 3, v54
	v_pk_add_f32 v[54:55], v[60:61], v[70:71]
	v_accvgpr_read_b32 v63, a36
	v_pk_add_f32 v[54:55], v[62:63], v[54:55]
	v_accvgpr_read_b32 v63, a45
	v_accvgpr_read_b32 v62, a44
	v_pk_add_f32 v[62:63], v[62:63], v[100:101] neg_lo:[0,1] neg_hi:[0,1]
	v_accvgpr_read_b32 v61, a39
	v_mov_b32_e32 v141, v63
	v_pk_add_f32 v[62:63], v[154:155], v[224:225] neg_lo:[0,1] neg_hi:[0,1]
	v_pk_add_f32 v[54:55], v[128:129], v[54:55]
	v_mov_b32_e32 v157, v63
	v_accvgpr_read_b32 v63, a59
	v_accvgpr_read_b32 v62, a58
	;; [unrolled: 1-line block ×3, first 2 shown]
	v_pk_add_f32 v[62:63], v[164:165], v[62:63] neg_lo:[0,1] neg_hi:[0,1]
	v_pk_add_f32 v[54:55], v[72:73], v[54:55]
	v_pk_add_f32 v[60:61], v[60:61], v[96:97] neg_lo:[0,1] neg_hi:[0,1]
	v_mov_b32_e32 v163, v63
	v_accvgpr_read_b32 v63, a57
	v_mov_b32_e32 v77, v159
	v_pk_add_f32 v[54:55], v[74:75], v[54:55]
	v_mov_b32_e32 v125, v61
	v_accvgpr_read_b32 v62, a56
	v_pk_add_f32 v[54:55], v[76:77], v[54:55]
	v_pk_add_f32 v[60:61], v[68:69], v[124:125]
	v_pk_add_f32 v[62:63], v[184:185], v[62:63] neg_lo:[0,1] neg_hi:[0,1]
	v_pk_add_f32 v[54:55], v[78:79], v[54:55]
	v_pk_add_f32 v[60:61], v[140:141], v[60:61]
	v_mov_b32_e32 v183, v63
	v_accvgpr_read_b32 v63, a55
	v_pk_add_f32 v[54:55], v[84:85], v[54:55]
	v_pk_add_f32 v[60:61], v[156:157], v[60:61]
	v_accvgpr_read_b32 v62, a54
	v_pk_add_f32 v[54:55], v[86:87], v[54:55]
	v_pk_add_f32 v[60:61], v[162:163], v[60:61]
	v_pk_add_f32 v[62:63], v[188:189], v[62:63] neg_lo:[0,1] neg_hi:[0,1]
	v_mov_b32_e32 v91, v169
	v_pk_add_f32 v[54:55], v[88:89], v[54:55]
	v_pk_add_f32 v[60:61], v[182:183], v[60:61]
	v_mov_b32_e32 v187, v63
	v_pk_add_f32 v[54:55], v[90:91], v[54:55]
	v_pk_add_f32 v[60:61], v[186:187], v[60:61]
	ds_write2_b64 v82, v[54:55], v[60:61] offset1:2
	v_pk_add_f32 v[60:61], v[198:199], v[174:175] neg_lo:[0,1] neg_hi:[0,1]
	v_pk_mul_f32 v[168:169], v[226:227], s[38:39]
	v_mov_b32_e32 v197, v61
	v_pk_add_f32 v[60:61], v[202:203], v[170:171] neg_lo:[0,1] neg_hi:[0,1]
	v_pk_mul_f32 v[158:159], v[146:147], s[18:19]
	v_mov_b32_e32 v201, v61
	v_pk_add_f32 v[60:61], v[204:205], v[168:169] neg_lo:[0,1] neg_hi:[0,1]
	v_pk_add_f32 v[54:55], v[194:195], v[166:167] neg_lo:[0,1] neg_hi:[0,1]
	v_mov_b32_e32 v211, v61
	v_pk_add_f32 v[60:61], v[178:179], v[176:177] neg_lo:[0,1] neg_hi:[0,1]
	v_mov_b32_e32 v193, v55
	v_mov_b32_e32 v181, v61
	v_pk_add_f32 v[60:61], v[208:209], v[158:159] neg_lo:[0,1] neg_hi:[0,1]
	v_pk_add_f32 v[54:55], v[68:69], v[192:193]
	v_mov_b32_e32 v207, v61
	v_pk_add_f32 v[60:61], v[68:69], v[222:223]
	v_pk_add_f32 v[54:55], v[196:197], v[54:55]
	;; [unrolled: 1-line block ×11, first 2 shown]
	ds_write2_b64 v82, v[54:55], v[48:49] offset0:4 offset1:6
	v_pk_add_f32 v[54:55], v[238:239], v[160:161] neg_lo:[0,1] neg_hi:[0,1]
	v_pk_mul_f32 v[226:227], v[226:227], s[20:21]
	v_mov_b32_e32 v237, v55
	v_pk_add_f32 v[54:55], v[242:243], v[80:81] neg_lo:[0,1] neg_hi:[0,1]
	v_pk_mul_f32 v[172:173], v[146:147], s[30:31]
	v_mov_b32_e32 v241, v55
	v_pk_add_f32 v[54:55], v[252:253], v[226:227] neg_lo:[0,1] neg_hi:[0,1]
	v_pk_add_f32 v[48:49], v[234:235], v[138:139] neg_lo:[0,1] neg_hi:[0,1]
	v_mov_b32_e32 v249, v55
	v_pk_add_f32 v[54:55], v[214:215], v[218:219] neg_lo:[0,1] neg_hi:[0,1]
	v_mov_b32_e32 v233, v49
	v_mov_b32_e32 v221, v55
	v_pk_add_f32 v[54:55], v[246:247], v[172:173] neg_lo:[0,1] neg_hi:[0,1]
	v_pk_add_f32 v[48:49], v[68:69], v[232:233]
	v_mov_b32_e32 v245, v55
	v_pk_add_f32 v[54:55], v[68:69], v[66:67]
	v_pk_add_f32 v[48:49], v[236:237], v[48:49]
	;; [unrolled: 1-line block ×11, first 2 shown]
	ds_write2_b64 v82, v[48:49], v[54:55] offset0:8 offset1:10
	v_pk_add_f32 v[48:49], v[68:69], v[58:59]
	v_accvgpr_read_b32 v55, a41
	v_accvgpr_read_b32 v59, a53
	v_accvgpr_read_b32 v54, a40
	v_accvgpr_read_b32 v58, a52
	v_pk_add_f32 v[54:55], v[54:55], v[58:59] neg_lo:[0,1] neg_hi:[0,1]
	v_accvgpr_read_b32 v59, a51
	v_mov_b32_e32 v133, v55
	v_accvgpr_read_b32 v55, a43
	v_accvgpr_read_b32 v54, a42
	;; [unrolled: 1-line block ×3, first 2 shown]
	v_pk_add_f32 v[54:55], v[54:55], v[58:59] neg_lo:[0,1] neg_hi:[0,1]
	v_accvgpr_read_b32 v59, a49
	v_mov_b32_e32 v137, v55
	v_accvgpr_read_b32 v55, a31
	v_pk_add_f32 v[48:49], v[64:65], v[48:49]
	v_accvgpr_read_b32 v54, a30
	v_accvgpr_read_b32 v58, a48
	v_pk_mul_f32 v[146:147], v[146:147], s[34:35]
	v_pk_add_f32 v[48:49], v[132:133], v[48:49]
	v_pk_add_f32 v[54:55], v[54:55], v[58:59] neg_lo:[0,1] neg_hi:[0,1]
	v_pk_add_f32 v[48:49], v[136:137], v[48:49]
	v_mov_b32_e32 v57, v55
	v_pk_add_f32 v[54:55], v[102:103], v[146:147] neg_lo:[0,1] neg_hi:[0,1]
	v_pk_add_f32 v[48:49], v[56:57], v[48:49]
	v_mov_b32_e32 v99, v55
	v_pk_add_f32 v[48:49], v[98:99], v[48:49]
	ds_write2_b64 v82, v[48:49], v[254:255] offset0:12 offset1:14
	v_mov_b32_e32 v48, v50
	v_mov_b32_e32 v49, v52
	v_accvgpr_read_b32 v55, a47
	ds_write2_b64 v82, v[48:49], v[46:47] offset0:16 offset1:18
	v_mov_b32_e32 v48, v53
	v_mov_b32_e32 v49, v51
	v_accvgpr_read_b32 v54, a46
	ds_write2_b64 v82, v[48:49], v[54:55] offset0:20 offset1:22
	ds_write_b64 v82, v[44:45] offset:192
.LBB0_25:
	s_or_b64 exec, exec, s[24:25]
	s_waitcnt lgkmcnt(0)
	s_barrier
	ds_read_b64 v[74:75], v92
	ds_read_b64 v[82:83], v92 offset:2288
	ds_read_b64 v[80:81], v92 offset:4576
	;; [unrolled: 1-line block ×6, first 2 shown]
                                        ; implicit-def: $vgpr72_vgpr73
	s_and_saveexec_b64 s[0:1], s[6:7]
	s_xor_b64 s[0:1], exec, s[0:1]
; %bb.26:
	v_accvgpr_read_b32 v49, a47
	v_accvgpr_read_b32 v48, a46
	v_mov_b32_e32 v121, v49
	v_accvgpr_read_b32 v72, a29
	v_mov_b32_e32 v73, v48
; %bb.27:
	s_andn2_saveexec_b64 s[0:1], s[0:1]
	s_cbranch_execz .LBB0_29
; %bb.28:
	ds_read_b64 v[48:49], v92 offset:10608
	ds_read_b64 v[44:45], v92 offset:12896
	ds_read_b64 v[50:51], v92 offset:15184
	ds_read_b64 v[254:255], v92 offset:1456
	ds_read_b64 v[52:53], v92 offset:3744
	ds_read_b64 v[46:47], v92 offset:6032
	ds_read_b64 v[54:55], v92 offset:8320
	s_waitcnt lgkmcnt(4)
	v_mov_b32_e32 v120, v50
	v_mov_b32_e32 v121, v49
	;; [unrolled: 1-line block ×4, first 2 shown]
	s_waitcnt lgkmcnt(2)
	v_mov_b32_e32 v50, v52
	s_waitcnt lgkmcnt(0)
	v_mov_b32_e32 v51, v55
	v_mov_b32_e32 v52, v53
	;; [unrolled: 1-line block ×3, first 2 shown]
.LBB0_29:
	s_or_b64 exec, exec, s[0:1]
	s_waitcnt lgkmcnt(3)
	v_pk_mul_f32 v[100:101], v[16:17], v[86:87] op_sel:[0,1] op_sel_hi:[1,0]
	v_pk_mul_f32 v[48:49], v[12:13], v[82:83] op_sel_hi:[1,0]
	v_mov_b32_e32 v88, v83
	v_mov_b32_e32 v100, v101
	s_waitcnt lgkmcnt(2)
	v_pk_mul_f32 v[102:103], v[18:19], v[84:85] op_sel:[0,1] op_sel_hi:[1,0]
	v_pk_mul_f32 v[90:91], v[14:15], v[80:81] op_sel_hi:[1,0]
	v_mov_b32_e32 v94, v81
	v_pk_mul_f32 v[96:97], v[16:17], v[86:87]
	v_mov_b32_e32 v98, v17
	v_pk_fma_f32 v[16:17], v[16:17], v[86:87], v[100:101] op_sel:[0,1,0] op_sel_hi:[1,0,1] neg_lo:[0,0,1] neg_hi:[0,0,1]
	v_mov_b32_e32 v100, v19
	v_mov_b32_e32 v102, v103
	v_pk_fma_f32 v[88:89], v[12:13], v[88:89], v[48:49] op_sel:[0,0,1] op_sel_hi:[1,1,0] neg_lo:[0,0,1] neg_hi:[0,0,1]
	v_pk_fma_f32 v[12:13], v[12:13], v[82:83], v[48:49] op_sel:[0,1,1] op_sel_hi:[1,1,0]
	v_pk_mul_f32 v[98:99], v[98:99], v[86:87] op_sel:[0,1] op_sel_hi:[1,0]
	v_pk_mul_f32 v[86:87], v[18:19], v[84:85]
	v_pk_mul_f32 v[100:101], v[100:101], v[84:85] op_sel:[0,1] op_sel_hi:[1,0]
	v_pk_fma_f32 v[18:19], v[18:19], v[84:85], v[102:103] op_sel:[0,1,0] op_sel_hi:[1,0,1] neg_lo:[0,0,1] neg_hi:[0,0,1]
	s_waitcnt lgkmcnt(1)
	v_pk_mul_f32 v[84:85], v[20:21], v[78:79] op_sel_hi:[1,0]
	v_mov_b32_e32 v102, v79
	v_mov_b32_e32 v89, v13
	v_pk_fma_f32 v[12:13], v[14:15], v[94:95], v[90:91] op_sel:[0,0,1] op_sel_hi:[1,1,0] neg_lo:[0,0,1] neg_hi:[0,0,1]
	v_pk_fma_f32 v[14:15], v[14:15], v[80:81], v[90:91] op_sel:[0,1,1] op_sel_hi:[1,1,0]
	s_waitcnt lgkmcnt(0)
	v_pk_mul_f32 v[104:105], v[22:23], v[76:77] op_sel_hi:[1,0]
	v_mov_b32_e32 v106, v77
	v_mov_b32_e32 v13, v15
	v_pk_fma_f32 v[14:15], v[20:21], v[102:103], v[84:85] op_sel:[0,0,1] op_sel_hi:[1,1,0] neg_lo:[0,0,1] neg_hi:[0,0,1]
	v_pk_fma_f32 v[20:21], v[20:21], v[78:79], v[84:85] op_sel:[0,1,1] op_sel_hi:[1,1,0]
	v_mov_b32_e32 v87, v88
	v_mov_b32_e32 v15, v21
	v_pk_fma_f32 v[20:21], v[22:23], v[106:107], v[104:105] op_sel:[0,0,1] op_sel_hi:[1,1,0] neg_lo:[0,0,1] neg_hi:[0,0,1]
	v_pk_fma_f32 v[22:23], v[22:23], v[76:77], v[104:105] op_sel:[0,1,1] op_sel_hi:[1,1,0]
	v_mov_b32_e32 v101, v20
	v_mov_b32_e32 v21, v23
	;; [unrolled: 1-line block ×4, first 2 shown]
	v_pk_add_f32 v[22:23], v[88:89], v[20:21]
	v_pk_add_f32 v[48:49], v[88:89], v[20:21] neg_lo:[0,1] neg_hi:[0,1]
	v_pk_add_f32 v[76:77], v[12:13], v[14:15]
	v_pk_add_f32 v[78:79], v[12:13], v[14:15] neg_lo:[0,1] neg_hi:[0,1]
	v_pk_add_f32 v[20:21], v[86:87], v[100:101]
	v_pk_add_f32 v[12:13], v[96:97], v[98:99]
	v_mov_b32_e32 v19, v20
	v_mov_b32_e32 v17, v12
	v_pk_add_f32 v[14:15], v[18:19], v[16:17] neg_lo:[0,1] neg_hi:[0,1]
	v_mov_b32_e32 v86, v77
	v_mov_b32_e32 v87, v16
	;; [unrolled: 1-line block ×4, first 2 shown]
	v_pk_add_f32 v[16:17], v[86:87], v[16:17]
	v_pk_add_f32 v[18:19], v[12:13], v[20:21]
	v_mov_b32_e32 v80, v14
	v_mov_b32_e32 v81, v49
	;; [unrolled: 1-line block ×4, first 2 shown]
	s_mov_b32 s2, 0x3f08b237
	v_mov_b32_e32 v20, v18
	v_mov_b32_e32 v87, v17
	s_mov_b32 s24, 0x3d64c772
	v_pk_add_f32 v[80:81], v[80:81], v[82:83] neg_lo:[0,1] neg_hi:[0,1]
	s_mov_b32 s3, 0xbeae86e6
	v_mov_b32_e32 v82, v48
	v_mov_b32_e32 v84, v14
	;; [unrolled: 1-line block ×3, first 2 shown]
	v_pk_add_f32 v[86:87], v[20:21], v[86:87] neg_lo:[0,1] neg_hi:[0,1]
	v_mov_b32_e32 v88, v23
	v_mov_b32_e32 v89, v17
	;; [unrolled: 1-line block ×3, first 2 shown]
	v_pk_add_f32 v[16:17], v[16:17], v[18:19]
	s_mov_b32 s25, 0x3f4a47b2
	v_pk_mul_f32 v[80:81], v[80:81], s[2:3]
	v_pk_add_f32 v[82:83], v[82:83], v[84:85] neg_lo:[0,1] neg_hi:[0,1]
	s_mov_b32 s6, s3
	s_mov_b32 s7, s2
	v_pk_add_f32 v[14:15], v[14:15], v[78:79]
	v_pk_add_f32 v[88:89], v[88:89], v[12:13] neg_lo:[0,1] neg_hi:[0,1]
	v_pk_add_f32 v[18:19], v[74:75], v[16:17]
	s_mov_b32 s22, 0xbf955555
	v_pk_mul_f32 v[74:75], v[86:87], s[24:25]
	s_mov_b32 s26, s25
	s_mov_b32 s27, s24
	v_pk_mul_f32 v[84:85], v[82:83], s[6:7]
	v_pk_add_f32 v[14:15], v[14:15], v[48:49]
	s_mov_b32 s0, 0xbee1c552
	v_pk_mul_f32 v[86:87], v[88:89], s[26:27]
	v_pk_fma_f32 v[16:17], v[16:17], s[22:23], v[18:19] op_sel_hi:[1,0,1]
	v_pk_fma_f32 v[88:89], v[88:89], s[26:27], v[74:75]
	v_pk_fma_f32 v[82:83], v[82:83], s[6:7], v[80:81]
	v_pk_add_f32 v[88:89], v[88:89], v[16:17]
	v_pk_fma_f32 v[82:83], v[14:15], s[0:1], v[82:83] op_sel_hi:[1,0,1]
	v_mov_b32_e32 v12, v77
	v_pk_add_f32 v[90:91], v[88:89], v[82:83]
	v_pk_add_f32 v[82:83], v[88:89], v[82:83] neg_lo:[0,1] neg_hi:[0,1]
	v_mov_b32_e32 v88, v90
	v_mov_b32_e32 v89, v83
	;; [unrolled: 1-line block ×3, first 2 shown]
	s_barrier
	ds_write2_b64 v93, v[18:19], v[88:89] offset1:26
	v_pk_add_f32 v[18:19], v[78:79], v[48:49] neg_lo:[0,1] neg_hi:[0,1]
	s_mov_b32 s16, 0xbf5ff5aa
	v_pk_add_f32 v[12:13], v[12:13], v[20:21] neg_lo:[0,1] neg_hi:[0,1]
	s_mov_b32 s18, 0x3f3bfb3b
	v_mov_b32_e32 v20, v86
	v_mov_b32_e32 v21, v75
	;; [unrolled: 1-line block ×6, first 2 shown]
	v_pk_fma_f32 v[20:21], v[12:13], s[18:19], v[20:21] op_sel_hi:[1,0,1] neg_lo:[1,0,1] neg_hi:[1,0,1]
	v_pk_fma_f32 v[22:23], v[18:19], s[16:17], v[22:23] op_sel_hi:[1,0,1] neg_lo:[1,0,1] neg_hi:[1,0,1]
	;; [unrolled: 1-line block ×4, first 2 shown]
	v_pk_add_f32 v[20:21], v[20:21], v[16:17]
	v_pk_fma_f32 v[22:23], v[14:15], s[0:1], v[22:23] op_sel_hi:[1,0,1]
	v_pk_add_f32 v[12:13], v[12:13], v[16:17]
	v_pk_fma_f32 v[14:15], v[14:15], s[0:1], v[18:19] op_sel_hi:[1,0,1]
	v_pk_add_f32 v[48:49], v[20:21], v[22:23]
	v_pk_add_f32 v[20:21], v[20:21], v[22:23] neg_lo:[0,1] neg_hi:[0,1]
	v_pk_add_f32 v[16:17], v[12:13], v[14:15] neg_lo:[0,1] neg_hi:[0,1]
	v_pk_add_f32 v[12:13], v[12:13], v[14:15]
	v_mov_b32_e32 v70, v26
	v_mov_b32_e32 v71, v26
	;; [unrolled: 1-line block ×34, first 2 shown]
	ds_write2_b64 v93, v[22:23], v[14:15] offset0:52 offset1:78
	ds_write2_b64 v93, v[12:13], v[20:21] offset0:104 offset1:130
	ds_write_b64 v93, v[82:83] offset:1248
	s_and_saveexec_b64 s[20:21], s[4:5]
	s_cbranch_execz .LBB0_31
; %bb.30:
	v_mov_b32_e32 v12, v3
	v_mov_b32_e32 v13, v8
	;; [unrolled: 1-line block ×7, first 2 shown]
	v_pk_mul_f32 v[6:7], v[6:7], v[46:47]
	v_pk_mul_f32 v[8:9], v[8:9], v[44:45]
	v_mov_b32_e32 v49, v44
	v_mov_b32_e32 v75, v45
	;; [unrolled: 1-line block ×5, first 2 shown]
	v_pk_mul_f32 v[8:9], v[20:21], v[120:121]
	v_mov_b32_e32 v18, v10
	v_pk_fma_f32 v[8:9], v[10:11], v[72:73], v[8:9] neg_lo:[0,0,1] neg_hi:[0,0,1]
	v_mov_b32_e32 v10, v5
	v_mov_b32_e32 v22, v11
	v_pk_mul_f32 v[10:11], v[10:11], v[50:51]
	v_mov_b32_e32 v14, v4
	v_mov_b32_e32 v16, v5
	v_pk_fma_f32 v[4:5], v[4:5], v[52:53], v[10:11] neg_lo:[0,0,1] neg_hi:[0,0,1]
	s_movk_i32 s1, 0xb6
	v_pk_add_f32 v[10:11], v[8:9], v[4:5]
	v_accvgpr_read_b32 v5, a15
	v_accvgpr_read_b32 v9, a26
	v_mov_b32_e32 v17, v1
	v_mov_b32_e32 v48, v73
	;; [unrolled: 1-line block ×5, first 2 shown]
	v_mad_legacy_u16 v5, v5, s1, v9
	v_mov_b32_e32 v15, v0
	v_pk_mul_f32 v[16:17], v[16:17], v[52:53]
	v_mov_b32_e32 v19, v2
	v_pk_mul_f32 v[22:23], v[22:23], v[72:73]
	v_pk_mul_f32 v[2:3], v[2:3], v[48:49]
	v_mov_b32_e32 v48, v121
	v_mov_b32_e32 v74, v121
	v_mov_b32_e32 v76, v0
	v_mov_b32_e32 v78, v53
	v_mov_b32_e32 v80, v53
	v_mov_b32_e32 v81, v47
	v_pk_mul_f32 v[82:83], v[82:83], v[84:85]
	v_lshlrev_b32_e32 v79, 3, v5
	v_pk_add_f32 v[6:7], v[44:45], v[6:7]
	v_pk_fma_f32 v[44:45], v[14:15], v[50:51], v[16:17]
	v_pk_fma_f32 v[14:15], v[14:15], v[50:51], v[16:17] neg_lo:[0,0,1] neg_hi:[0,0,1]
	v_pk_fma_f32 v[16:17], v[18:19], v[120:121], v[22:23]
	v_pk_fma_f32 v[18:19], v[18:19], v[120:121], v[22:23] neg_lo:[0,0,1] neg_hi:[0,0,1]
	;; [unrolled: 2-line block ×4, first 2 shown]
	v_mov_b32_e32 v20, v7
	v_mov_b32_e32 v45, v15
	;; [unrolled: 1-line block ×7, first 2 shown]
	v_pk_add_f32 v[20:21], v[6:7], v[20:21]
	v_pk_add_f32 v[46:47], v[16:17], v[44:45]
	;; [unrolled: 1-line block ×3, first 2 shown]
	v_pk_add_f32 v[4:5], v[4:5], v[8:9] neg_lo:[0,1] neg_hi:[0,1]
	v_mov_b32_e32 v8, v19
	v_mov_b32_e32 v9, v22
	;; [unrolled: 1-line block ×7, first 2 shown]
	v_pk_add_f32 v[0:1], v[8:9], v[14:15] neg_lo:[0,1] neg_hi:[0,1]
	v_mov_b32_e32 v8, v13
	v_mov_b32_e32 v9, v7
	;; [unrolled: 1-line block ×4, first 2 shown]
	v_pk_add_f32 v[72:73], v[72:73], v[20:21] neg_lo:[0,1] neg_hi:[0,1]
	v_mov_b32_e32 v21, v49
	v_mov_b32_e32 v74, v46
	;; [unrolled: 1-line block ×3, first 2 shown]
	v_pk_add_f32 v[2:3], v[8:9], v[2:3] neg_lo:[0,1] neg_hi:[0,1]
	v_pk_add_f32 v[50:51], v[46:47], v[48:49] neg_lo:[0,1] neg_hi:[0,1]
	v_pk_add_f32 v[10:11], v[20:21], v[74:75]
	v_mov_b32_e32 v49, v47
	v_mov_b32_e32 v12, v0
	;; [unrolled: 1-line block ×5, first 2 shown]
	v_pk_add_f32 v[10:11], v[48:49], v[10:11]
	v_mov_b32_e32 v6, v4
	v_mov_b32_e32 v7, v1
	;; [unrolled: 1-line block ×4, first 2 shown]
	v_pk_add_f32 v[12:13], v[12:13], v[14:15] neg_lo:[0,1] neg_hi:[0,1]
	v_pk_mul_f32 v[72:73], v[72:73], s[24:25]
	v_pk_add_f32 v[46:47], v[254:255], v[10:11]
	v_pk_add_f32 v[6:7], v[6:7], v[8:9] neg_lo:[0,1] neg_hi:[0,1]
	v_pk_mul_f32 v[12:13], v[12:13], s[2:3]
	v_pk_add_f32 v[0:1], v[0:1], v[2:3]
	v_pk_mul_f32 v[52:53], v[50:51], s[26:27]
	v_pk_fma_f32 v[50:51], v[50:51], s[26:27], v[72:73]
	v_pk_fma_f32 v[10:11], v[10:11], s[22:23], v[46:47] op_sel_hi:[1,0,1]
	v_pk_mul_f32 v[8:9], v[6:7], s[6:7]
	v_pk_fma_f32 v[6:7], v[6:7], s[6:7], v[12:13]
	v_pk_add_f32 v[0:1], v[0:1], v[4:5]
	v_pk_add_f32 v[48:49], v[50:51], v[10:11]
	v_pk_fma_f32 v[6:7], v[0:1], s[0:1], v[6:7] op_sel_hi:[1,0,1]
	v_pk_add_f32 v[2:3], v[2:3], v[4:5] neg_lo:[0,1] neg_hi:[0,1]
	v_pk_add_f32 v[14:15], v[48:49], v[6:7] neg_lo:[0,1] neg_hi:[0,1]
	v_pk_add_f32 v[6:7], v[48:49], v[6:7]
	v_mov_b32_e32 v17, v15
	v_mov_b32_e32 v16, v6
	v_mov_b32_e32 v4, v8
	v_mov_b32_e32 v5, v13
	v_mov_b32_e32 v13, v9
	ds_write2_b64 v79, v[46:47], v[16:17] offset1:26
	v_mov_b32_e32 v16, v52
	v_mov_b32_e32 v17, v73
	v_pk_add_f32 v[18:19], v[20:21], v[74:75] neg_lo:[0,1] neg_hi:[0,1]
	v_pk_fma_f32 v[4:5], v[2:3], s[16:17], v[4:5] op_sel_hi:[1,0,1] neg_lo:[1,0,1] neg_hi:[1,0,1]
	v_pk_fma_f32 v[2:3], v[2:3], s[16:17], v[12:13] op_sel_hi:[1,0,1] neg_lo:[0,0,1] neg_hi:[0,0,1]
	v_mov_b32_e32 v73, v53
	v_pk_fma_f32 v[16:17], v[18:19], s[18:19], v[16:17] op_sel_hi:[1,0,1] neg_lo:[1,0,1] neg_hi:[1,0,1]
	v_pk_fma_f32 v[4:5], v[0:1], s[0:1], v[4:5] op_sel_hi:[1,0,1]
	v_pk_fma_f32 v[0:1], v[0:1], s[0:1], v[2:3] op_sel_hi:[1,0,1]
	v_pk_fma_f32 v[2:3], v[18:19], s[18:19], v[72:73] op_sel_hi:[1,0,1] neg_lo:[0,0,1] neg_hi:[0,0,1]
	v_pk_add_f32 v[16:17], v[16:17], v[10:11]
	v_pk_add_f32 v[2:3], v[2:3], v[10:11]
	v_pk_add_f32 v[20:21], v[16:17], v[4:5] neg_lo:[0,1] neg_hi:[0,1]
	v_pk_add_f32 v[4:5], v[16:17], v[4:5]
	v_pk_add_f32 v[8:9], v[2:3], v[0:1]
	v_pk_add_f32 v[0:1], v[2:3], v[0:1] neg_lo:[0,1] neg_hi:[0,1]
	v_mov_b32_e32 v16, v4
	v_mov_b32_e32 v17, v21
	;; [unrolled: 1-line block ×7, first 2 shown]
	ds_write2_b64 v79, v[16:17], v[2:3] offset0:52 offset1:78
	ds_write2_b64 v79, v[8:9], v[20:21] offset0:104 offset1:130
	ds_write_b64 v79, v[14:15] offset:1248
.LBB0_31:
	s_or_b64 exec, exec, s[20:21]
	v_add_u32_e32 v93, 0xa00, v92
	s_waitcnt lgkmcnt(0)
	s_barrier
	ds_read2_b64 v[8:11], v93 offset0:44 offset1:226
	ds_read2_b64 v[0:3], v92 offset1:182
	v_add_u32_e32 v114, 0x1600, v92
	ds_read2_b64 v[12:15], v114 offset0:24 offset1:206
	v_add_u32_e32 v115, 0x2000, v92
	s_waitcnt lgkmcnt(2)
	v_pk_mul_f32 v[26:27], v[26:27], v[8:9]
	ds_read2_b64 v[16:19], v115 offset0:68 offset1:250
	v_pk_fma_f32 v[46:47], v[70:71], v[8:9], v[26:27] op_sel:[0,0,1] op_sel_hi:[1,1,0]
	v_pk_fma_f32 v[8:9], v[70:71], v[8:9], v[26:27] op_sel:[0,0,1] op_sel_hi:[1,1,0] neg_lo:[0,0,1] neg_hi:[0,0,1]
	v_add_u32_e32 v116, 0x2c00, v92
	v_mov_b32_e32 v47, v9
	v_pk_mul_f32 v[8:9], v[40:41], v[10:11]
	ds_read2_b64 v[20:23], v116 offset0:48 offset1:230
	ds_read_b64 v[44:45], v92 offset:14560
	v_pk_fma_f32 v[26:27], v[68:69], v[10:11], v[8:9] op_sel:[0,0,1] op_sel_hi:[1,1,0]
	v_pk_fma_f32 v[8:9], v[68:69], v[10:11], v[8:9] op_sel:[0,0,1] op_sel_hi:[1,1,0] neg_lo:[0,0,1] neg_hi:[0,0,1]
	v_accvgpr_read_b32 v118, a14
	v_mov_b32_e32 v27, v9
	s_waitcnt lgkmcnt(3)
	v_pk_mul_f32 v[8:9], v[42:43], v[12:13]
	v_mov_b32_e32 v4, s10
	v_pk_fma_f32 v[10:11], v[66:67], v[12:13], v[8:9] op_sel:[0,0,1] op_sel_hi:[1,1,0]
	v_pk_fma_f32 v[8:9], v[66:67], v[12:13], v[8:9] op_sel:[0,0,1] op_sel_hi:[1,1,0] neg_lo:[0,0,1] neg_hi:[0,0,1]
	v_mad_u64_u32 v[6:7], s[0:1], s14, v118, 0
	v_mov_b32_e32 v11, v9
	v_pk_mul_f32 v[8:9], v[36:37], v[14:15]
	s_mov_b32 s10, 0xbf0a6770
	v_pk_fma_f32 v[12:13], v[64:65], v[14:15], v[8:9] op_sel:[0,0,1] op_sel_hi:[1,1,0]
	v_pk_fma_f32 v[8:9], v[64:65], v[14:15], v[8:9] op_sel:[0,0,1] op_sel_hi:[1,1,0] neg_lo:[0,0,1] neg_hi:[0,0,1]
	s_mov_b32 s0, 0x3f575c64
	v_mov_b32_e32 v13, v9
	s_waitcnt lgkmcnt(2)
	v_pk_mul_f32 v[8:9], v[38:39], v[16:17]
	s_mov_b32 s22, 0xbf68dda4
	v_pk_fma_f32 v[14:15], v[62:63], v[16:17], v[8:9] op_sel:[0,0,1] op_sel_hi:[1,1,0]
	v_pk_fma_f32 v[8:9], v[62:63], v[16:17], v[8:9] op_sel:[0,0,1] op_sel_hi:[1,1,0] neg_lo:[0,0,1] neg_hi:[0,0,1]
	s_mov_b32 s2, 0x3ed4b147
	v_mov_b32_e32 v15, v9
	v_pk_mul_f32 v[8:9], v[28:29], v[18:19]
	s_mov_b32 s6, 0xbf7d64f0
	v_pk_fma_f32 v[16:17], v[60:61], v[18:19], v[8:9] op_sel:[0,0,1] op_sel_hi:[1,1,0]
	v_pk_fma_f32 v[8:9], v[60:61], v[18:19], v[8:9] op_sel:[0,0,1] op_sel_hi:[1,1,0] neg_lo:[0,0,1] neg_hi:[0,0,1]
	s_mov_b32 s4, 0xbe11bafb
	v_mov_b32_e32 v17, v9
	s_waitcnt lgkmcnt(1)
	v_pk_mul_f32 v[8:9], v[30:31], v[20:21]
	s_mov_b32 s16, 0xbf4178ce
	v_pk_fma_f32 v[18:19], v[58:59], v[20:21], v[8:9] op_sel:[0,0,1] op_sel_hi:[1,1,0]
	v_pk_fma_f32 v[8:9], v[58:59], v[20:21], v[8:9] op_sel:[0,0,1] op_sel_hi:[1,1,0] neg_lo:[0,0,1] neg_hi:[0,0,1]
	s_mov_b32 s14, 0xbf27a4f4
	v_mov_b32_e32 v19, v9
	v_pk_mul_f32 v[8:9], v[32:33], v[22:23]
	s_mov_b32 s20, 0xbe903f40
	v_pk_fma_f32 v[20:21], v[56:57], v[22:23], v[8:9] op_sel:[0,0,1] op_sel_hi:[1,1,0]
	v_pk_fma_f32 v[8:9], v[56:57], v[22:23], v[8:9] op_sel:[0,0,1] op_sel_hi:[1,1,0] neg_lo:[0,0,1] neg_hi:[0,0,1]
	s_mov_b32 s18, 0xbf75a155
	v_mov_b32_e32 v21, v9
	s_waitcnt lgkmcnt(0)
	v_pk_mul_f32 v[8:9], v[34:35], v[44:45]
	v_pk_add_f32 v[32:33], v[46:47], v[20:21]
	v_pk_fma_f32 v[22:23], v[54:55], v[44:45], v[8:9] op_sel:[0,0,1] op_sel_hi:[1,1,0]
	v_pk_fma_f32 v[8:9], v[54:55], v[44:45], v[8:9] op_sel:[0,0,1] op_sel_hi:[1,1,0] neg_lo:[0,0,1] neg_hi:[0,0,1]
	s_mov_b32 s24, 0x3f7d64f0
	v_mov_b32_e32 v23, v9
	v_pk_mul_f32 v[8:9], v[24:25], v[2:3] op_sel:[1,0]
	s_mov_b32 s26, 0x3f0a6770
	v_pk_fma_f32 v[28:29], v[24:25], v[2:3], v[8:9] op_sel:[0,0,1] op_sel_hi:[1,1,0]
	v_pk_fma_f32 v[2:3], v[24:25], v[2:3], v[8:9] op_sel:[0,0,1] op_sel_hi:[0,1,0] neg_lo:[0,0,1] neg_hi:[0,0,1]
	v_mov_b32_e32 v29, v3
	v_pk_add_f32 v[2:3], v[0:1], v[28:29]
	v_pk_add_f32 v[8:9], v[28:29], v[22:23]
	;; [unrolled: 1-line block ×3, first 2 shown]
	v_mov_b32_e32 v5, s11
	v_pk_add_f32 v[2:3], v[2:3], v[26:27]
	s_nop 0
	v_pk_add_f32 v[2:3], v[2:3], v[10:11]
	s_nop 0
	;; [unrolled: 2-line block ×6, first 2 shown]
	v_pk_add_f32 v[2:3], v[2:3], v[20:21]
	v_pk_add_f32 v[20:21], v[46:47], v[20:21] neg_lo:[0,1] neg_hi:[0,1]
	v_pk_add_f32 v[2:3], v[2:3], v[22:23]
	v_pk_add_f32 v[22:23], v[28:29], v[22:23] neg_lo:[0,1] neg_hi:[0,1]
	v_pk_mul_f32 v[34:35], v[20:21], s[22:23] op_sel_hi:[1,0]
	v_pk_mul_f32 v[24:25], v[22:23], s[10:11] op_sel_hi:[1,0]
	v_pk_fma_f32 v[36:37], v[32:33], s[2:3], v[34:35] op_sel:[0,0,1] op_sel_hi:[1,0,0]
	v_pk_fma_f32 v[28:29], v[8:9], s[0:1], v[24:25] op_sel:[0,0,1] op_sel_hi:[1,0,0]
	v_pk_fma_f32 v[24:25], v[8:9], s[0:1], v[24:25] op_sel:[0,0,1] op_sel_hi:[1,0,0] neg_lo:[0,0,1] neg_hi:[0,0,1]
	v_mov_b32_e32 v30, v28
	v_mov_b32_e32 v31, v25
	v_pk_fma_f32 v[34:35], v[32:33], s[2:3], v[34:35] op_sel:[0,0,1] op_sel_hi:[1,0,0] neg_lo:[0,0,1] neg_hi:[0,0,1]
	v_pk_add_f32 v[30:31], v[0:1], v[30:31]
	v_mov_b32_e32 v38, v36
	v_mov_b32_e32 v39, v35
	v_pk_add_f32 v[30:31], v[38:39], v[30:31]
	v_pk_add_f32 v[38:39], v[26:27], v[18:19]
	v_pk_add_f32 v[18:19], v[26:27], v[18:19] neg_lo:[0,1] neg_hi:[0,1]
	v_pk_mul_f32 v[52:53], v[20:21], s[16:17] op_sel_hi:[1,0]
	v_pk_mul_f32 v[26:27], v[18:19], s[6:7] op_sel_hi:[1,0]
	v_pk_fma_f32 v[54:55], v[32:33], s[14:15], v[52:53] op_sel:[0,0,1] op_sel_hi:[1,0,0]
	v_pk_fma_f32 v[40:41], v[38:39], s[4:5], v[26:27] op_sel:[0,0,1] op_sel_hi:[1,0,0]
	v_pk_fma_f32 v[26:27], v[38:39], s[4:5], v[26:27] op_sel:[0,0,1] op_sel_hi:[1,0,0] neg_lo:[0,0,1] neg_hi:[0,0,1]
	v_mov_b32_e32 v42, v40
	v_mov_b32_e32 v43, v27
	v_pk_add_f32 v[30:31], v[42:43], v[30:31]
	v_pk_add_f32 v[42:43], v[10:11], v[16:17]
	v_pk_add_f32 v[10:11], v[10:11], v[16:17] neg_lo:[0,1] neg_hi:[0,1]
	v_pk_fma_f32 v[52:53], v[32:33], s[14:15], v[52:53] op_sel:[0,0,1] op_sel_hi:[1,0,0] neg_lo:[0,0,1] neg_hi:[0,0,1]
	v_pk_mul_f32 v[16:17], v[10:11], s[16:17] op_sel_hi:[1,0]
	v_mov_b32_e32 v56, v54
	v_pk_fma_f32 v[44:45], v[42:43], s[14:15], v[16:17] op_sel:[0,0,1] op_sel_hi:[1,0,0]
	v_pk_fma_f32 v[16:17], v[42:43], s[14:15], v[16:17] op_sel:[0,0,1] op_sel_hi:[1,0,0] neg_lo:[0,0,1] neg_hi:[0,0,1]
	v_mov_b32_e32 v46, v44
	v_mov_b32_e32 v47, v17
	v_pk_add_f32 v[30:31], v[46:47], v[30:31]
	v_pk_add_f32 v[46:47], v[12:13], v[14:15]
	v_pk_add_f32 v[12:13], v[12:13], v[14:15] neg_lo:[0,1] neg_hi:[0,1]
	v_mov_b32_e32 v57, v53
	v_pk_mul_f32 v[14:15], v[12:13], s[20:21] op_sel_hi:[1,0]
	v_pk_mul_f32 v[94:95], v[20:21], s[24:25] op_sel_hi:[1,0]
	v_pk_fma_f32 v[48:49], v[46:47], s[18:19], v[14:15] op_sel:[0,0,1] op_sel_hi:[1,0,0]
	v_pk_fma_f32 v[14:15], v[46:47], s[18:19], v[14:15] op_sel:[0,0,1] op_sel_hi:[1,0,0] neg_lo:[0,0,1] neg_hi:[0,0,1]
	v_mov_b32_e32 v50, v48
	v_mov_b32_e32 v51, v15
	v_pk_add_f32 v[30:31], v[50:51], v[30:31]
	ds_write2_b64 v92, v[2:3], v[30:31] offset1:182
	v_pk_mul_f32 v[2:3], v[22:23], s[22:23] op_sel_hi:[1,0]
	s_mov_b32 s22, 0x3e903f40
	v_pk_fma_f32 v[30:31], v[8:9], s[2:3], v[2:3] op_sel:[0,0,1] op_sel_hi:[1,0,0]
	v_pk_fma_f32 v[2:3], v[8:9], s[2:3], v[2:3] op_sel:[0,0,1] op_sel_hi:[1,0,0] neg_lo:[0,0,1] neg_hi:[0,0,1]
	v_mov_b32_e32 v50, v30
	v_mov_b32_e32 v51, v3
	v_pk_add_f32 v[50:51], v[0:1], v[50:51]
	v_pk_mul_f32 v[74:75], v[20:21], s[22:23] op_sel_hi:[1,0]
	v_pk_add_f32 v[50:51], v[56:57], v[50:51]
	v_pk_mul_f32 v[56:57], v[18:19], s[22:23] op_sel_hi:[1,0]
	v_pk_fma_f32 v[76:77], v[32:33], s[18:19], v[74:75] op_sel:[0,0,1] op_sel_hi:[1,0,0]
	v_pk_fma_f32 v[58:59], v[38:39], s[18:19], v[56:57] op_sel:[0,0,1] op_sel_hi:[1,0,0]
	v_pk_fma_f32 v[56:57], v[38:39], s[18:19], v[56:57] op_sel:[0,0,1] op_sel_hi:[1,0,0] neg_lo:[0,0,1] neg_hi:[0,0,1]
	v_mov_b32_e32 v60, v58
	v_mov_b32_e32 v61, v57
	v_pk_add_f32 v[50:51], v[60:61], v[50:51]
	v_pk_mul_f32 v[60:61], v[10:11], s[24:25] op_sel_hi:[1,0]
	v_pk_fma_f32 v[74:75], v[32:33], s[18:19], v[74:75] op_sel:[0,0,1] op_sel_hi:[1,0,0] neg_lo:[0,0,1] neg_hi:[0,0,1]
	v_pk_fma_f32 v[62:63], v[42:43], s[4:5], v[60:61] op_sel:[0,0,1] op_sel_hi:[1,0,0]
	v_pk_fma_f32 v[60:61], v[42:43], s[4:5], v[60:61] op_sel:[0,0,1] op_sel_hi:[1,0,0] neg_lo:[0,0,1] neg_hi:[0,0,1]
	v_mov_b32_e32 v64, v62
	v_mov_b32_e32 v65, v61
	v_pk_add_f32 v[50:51], v[64:65], v[50:51]
	v_pk_mul_f32 v[64:65], v[12:13], s[26:27] op_sel_hi:[1,0]
	v_mov_b32_e32 v78, v76
	v_pk_fma_f32 v[66:67], v[46:47], s[0:1], v[64:65] op_sel:[0,0,1] op_sel_hi:[1,0,0]
	v_pk_fma_f32 v[64:65], v[46:47], s[0:1], v[64:65] op_sel:[0,0,1] op_sel_hi:[1,0,0] neg_lo:[0,0,1] neg_hi:[0,0,1]
	v_mov_b32_e32 v68, v66
	v_mov_b32_e32 v69, v65
	v_pk_add_f32 v[50:51], v[68:69], v[50:51]
	v_pk_mul_f32 v[68:69], v[22:23], s[6:7] op_sel_hi:[1,0]
	v_mov_b32_e32 v79, v75
	v_pk_fma_f32 v[70:71], v[8:9], s[4:5], v[68:69] op_sel:[0,0,1] op_sel_hi:[1,0,0]
	v_pk_fma_f32 v[68:69], v[8:9], s[4:5], v[68:69] op_sel:[0,0,1] op_sel_hi:[1,0,0] neg_lo:[0,0,1] neg_hi:[0,0,1]
	v_mov_b32_e32 v72, v70
	v_mov_b32_e32 v73, v69
	v_pk_add_f32 v[72:73], v[0:1], v[72:73]
	s_mov_b32 s22, 0x3f68dda4
	v_pk_add_f32 v[72:73], v[78:79], v[72:73]
	v_pk_mul_f32 v[78:79], v[18:19], s[22:23] op_sel_hi:[1,0]
	v_pk_fma_f32 v[96:97], v[32:33], s[4:5], v[94:95] op_sel:[0,0,1] op_sel_hi:[1,0,0]
	v_pk_fma_f32 v[80:81], v[38:39], s[2:3], v[78:79] op_sel:[0,0,1] op_sel_hi:[1,0,0]
	v_pk_fma_f32 v[78:79], v[38:39], s[2:3], v[78:79] op_sel:[0,0,1] op_sel_hi:[1,0,0] neg_lo:[0,0,1] neg_hi:[0,0,1]
	v_mov_b32_e32 v82, v80
	v_mov_b32_e32 v83, v79
	v_pk_add_f32 v[72:73], v[82:83], v[72:73]
	v_pk_mul_f32 v[82:83], v[10:11], s[10:11] op_sel_hi:[1,0]
	v_pk_fma_f32 v[94:95], v[32:33], s[4:5], v[94:95] op_sel:[0,0,1] op_sel_hi:[1,0,0] neg_lo:[0,0,1] neg_hi:[0,0,1]
	v_pk_fma_f32 v[84:85], v[42:43], s[0:1], v[82:83] op_sel:[0,0,1] op_sel_hi:[1,0,0]
	v_pk_fma_f32 v[82:83], v[42:43], s[0:1], v[82:83] op_sel:[0,0,1] op_sel_hi:[1,0,0] neg_lo:[0,0,1] neg_hi:[0,0,1]
	v_mov_b32_e32 v86, v84
	v_mov_b32_e32 v87, v83
	v_pk_add_f32 v[72:73], v[86:87], v[72:73]
	v_pk_mul_f32 v[86:87], v[12:13], s[16:17] op_sel_hi:[1,0]
	v_mov_b32_e32 v98, v96
	v_pk_fma_f32 v[88:89], v[46:47], s[14:15], v[86:87] op_sel:[0,0,1] op_sel_hi:[1,0,0]
	v_pk_fma_f32 v[86:87], v[46:47], s[14:15], v[86:87] op_sel:[0,0,1] op_sel_hi:[1,0,0] neg_lo:[0,0,1] neg_hi:[0,0,1]
	v_mov_b32_e32 v90, v88
	v_mov_b32_e32 v91, v87
	v_pk_add_f32 v[72:73], v[90:91], v[72:73]
	ds_write2_b64 v93, v[50:51], v[72:73] offset0:44 offset1:226
	v_pk_mul_f32 v[50:51], v[22:23], s[16:17] op_sel_hi:[1,0]
	v_mov_b32_e32 v99, v95
	v_pk_fma_f32 v[72:73], v[8:9], s[14:15], v[50:51] op_sel:[0,0,1] op_sel_hi:[1,0,0]
	v_pk_fma_f32 v[50:51], v[8:9], s[14:15], v[50:51] op_sel:[0,0,1] op_sel_hi:[1,0,0] neg_lo:[0,0,1] neg_hi:[0,0,1]
	v_mov_b32_e32 v90, v72
	v_mov_b32_e32 v91, v51
	v_pk_add_f32 v[90:91], v[0:1], v[90:91]
	v_pk_mul_f32 v[22:23], v[22:23], s[20:21] op_sel_hi:[1,0]
	v_pk_add_f32 v[90:91], v[98:99], v[90:91]
	v_pk_mul_f32 v[98:99], v[18:19], s[10:11] op_sel_hi:[1,0]
	v_pk_mul_f32 v[20:21], v[20:21], s[26:27] op_sel_hi:[1,0]
	v_pk_fma_f32 v[100:101], v[38:39], s[0:1], v[98:99] op_sel:[0,0,1] op_sel_hi:[1,0,0]
	v_pk_fma_f32 v[98:99], v[38:39], s[0:1], v[98:99] op_sel:[0,0,1] op_sel_hi:[1,0,0] neg_lo:[0,0,1] neg_hi:[0,0,1]
	v_mov_b32_e32 v102, v100
	v_mov_b32_e32 v103, v99
	v_pk_add_f32 v[90:91], v[102:103], v[90:91]
	v_pk_mul_f32 v[102:103], v[10:11], s[20:21] op_sel_hi:[1,0]
	v_pk_fma_f32 v[112:113], v[32:33], s[0:1], v[20:21] op_sel:[0,0,1] op_sel_hi:[1,0,0]
	v_pk_fma_f32 v[104:105], v[42:43], s[18:19], v[102:103] op_sel:[0,0,1] op_sel_hi:[1,0,0]
	v_pk_fma_f32 v[102:103], v[42:43], s[18:19], v[102:103] op_sel:[0,0,1] op_sel_hi:[1,0,0] neg_lo:[0,0,1] neg_hi:[0,0,1]
	v_mov_b32_e32 v106, v104
	v_mov_b32_e32 v107, v103
	v_pk_add_f32 v[90:91], v[106:107], v[90:91]
	v_pk_mul_f32 v[106:107], v[12:13], s[22:23] op_sel_hi:[1,0]
	v_pk_fma_f32 v[20:21], v[32:33], s[0:1], v[20:21] op_sel:[0,0,1] op_sel_hi:[1,0,0] neg_lo:[0,0,1] neg_hi:[0,0,1]
	v_pk_fma_f32 v[108:109], v[46:47], s[2:3], v[106:107] op_sel:[0,0,1] op_sel_hi:[1,0,0]
	v_pk_fma_f32 v[106:107], v[46:47], s[2:3], v[106:107] op_sel:[0,0,1] op_sel_hi:[1,0,0] neg_lo:[0,0,1] neg_hi:[0,0,1]
	v_mov_b32_e32 v110, v108
	v_mov_b32_e32 v111, v107
	v_pk_add_f32 v[90:91], v[110:111], v[90:91]
	v_pk_fma_f32 v[110:111], v[8:9], s[18:19], v[22:23] op_sel:[0,0,1] op_sel_hi:[1,0,0]
	v_pk_fma_f32 v[8:9], v[8:9], s[18:19], v[22:23] op_sel:[0,0,1] op_sel_hi:[1,0,0] neg_lo:[0,0,1] neg_hi:[0,0,1]
	v_mov_b32_e32 v22, v110
	v_mov_b32_e32 v23, v9
	v_pk_add_f32 v[22:23], v[0:1], v[22:23]
	v_mov_b32_e32 v32, v112
	v_mov_b32_e32 v33, v21
	v_pk_mul_f32 v[18:19], v[18:19], s[16:17] op_sel_hi:[1,0]
	v_pk_add_f32 v[22:23], v[32:33], v[22:23]
	v_pk_fma_f32 v[32:33], v[38:39], s[14:15], v[18:19] op_sel:[0,0,1] op_sel_hi:[1,0,0]
	v_pk_fma_f32 v[18:19], v[38:39], s[14:15], v[18:19] op_sel:[0,0,1] op_sel_hi:[1,0,0] neg_lo:[0,0,1] neg_hi:[0,0,1]
	v_mov_b32_e32 v9, v111
	v_mov_b32_e32 v38, v32
	;; [unrolled: 1-line block ×3, first 2 shown]
	v_pk_mul_f32 v[10:11], v[10:11], s[22:23] op_sel_hi:[1,0]
	v_pk_add_f32 v[8:9], v[0:1], v[8:9]
	v_mov_b32_e32 v21, v113
	v_pk_add_f32 v[22:23], v[38:39], v[22:23]
	v_pk_fma_f32 v[38:39], v[42:43], s[2:3], v[10:11] op_sel:[0,0,1] op_sel_hi:[1,0,0]
	v_pk_fma_f32 v[10:11], v[42:43], s[2:3], v[10:11] op_sel:[0,0,1] op_sel_hi:[1,0,0] neg_lo:[0,0,1] neg_hi:[0,0,1]
	v_pk_add_f32 v[8:9], v[20:21], v[8:9]
	v_mov_b32_e32 v19, v33
	v_mov_b32_e32 v43, v11
	v_pk_add_f32 v[8:9], v[18:19], v[8:9]
	v_mov_b32_e32 v11, v39
	v_mov_b32_e32 v51, v73
	v_pk_add_f32 v[8:9], v[10:11], v[8:9]
	v_pk_add_f32 v[10:11], v[0:1], v[50:51]
	v_mov_b32_e32 v95, v97
	v_mov_b32_e32 v42, v38
	v_pk_mul_f32 v[12:13], v[12:13], s[6:7] op_sel_hi:[1,0]
	v_pk_add_f32 v[10:11], v[94:95], v[10:11]
	v_mov_b32_e32 v99, v101
	v_pk_add_f32 v[22:23], v[42:43], v[22:23]
	v_pk_fma_f32 v[42:43], v[46:47], s[4:5], v[12:13] op_sel:[0,0,1] op_sel_hi:[1,0,0]
	v_pk_fma_f32 v[12:13], v[46:47], s[4:5], v[12:13] op_sel:[0,0,1] op_sel_hi:[1,0,0] neg_lo:[0,0,1] neg_hi:[0,0,1]
	v_pk_add_f32 v[10:11], v[98:99], v[10:11]
	v_mov_b32_e32 v103, v105
	v_mov_b32_e32 v46, v42
	v_mov_b32_e32 v47, v13
	v_mov_b32_e32 v13, v43
	v_pk_add_f32 v[10:11], v[102:103], v[10:11]
	v_mov_b32_e32 v107, v109
	v_pk_add_f32 v[22:23], v[46:47], v[22:23]
	v_pk_add_f32 v[8:9], v[12:13], v[8:9]
	;; [unrolled: 1-line block ×3, first 2 shown]
	v_mov_b32_e32 v69, v71
	v_mov_b32_e32 v3, v31
	;; [unrolled: 1-line block ×3, first 2 shown]
	ds_write2_b64 v114, v[90:91], v[22:23] offset0:24 offset1:206
	ds_write2_b64 v115, v[8:9], v[10:11] offset0:68 offset1:250
	v_pk_add_f32 v[8:9], v[0:1], v[68:69]
	v_mov_b32_e32 v75, v77
	v_pk_add_f32 v[2:3], v[0:1], v[2:3]
	v_mov_b32_e32 v53, v55
	;; [unrolled: 2-line block ×12, first 2 shown]
	v_pk_add_f32 v[8:9], v[86:87], v[8:9]
	v_pk_add_f32 v[2:3], v[64:65], v[2:3]
	v_pk_add_f32 v[0:1], v[14:15], v[0:1]
	ds_write2_b64 v116, v[8:9], v[2:3] offset0:48 offset1:230
	ds_write_b64 v92, v[0:1] offset:14560
	s_waitcnt lgkmcnt(0)
	s_barrier
	ds_read2_b64 v[0:3], v92 offset1:182
	v_mov_b32_e32 v8, v7
	v_accvgpr_read_b32 v10, a24
	v_mad_u64_u32 v[8:9], s[0:1], s15, v118, v[8:9]
	v_accvgpr_read_b32 v11, a25
	v_mov_b32_e32 v7, v8
	s_waitcnt lgkmcnt(0)
	v_mul_f32_e32 v8, v11, v1
	v_fmac_f32_e32 v8, v10, v0
	v_mul_f32_e32 v0, v11, v0
	s_mov_b32 s0, 0x27a3ee9c
	v_fma_f32 v0, v10, v1, -v0
	s_mov_b32 s1, 0x3f405e1d
	v_cvt_f64_f32_e32 v[0:1], v0
	v_cvt_f64_f32_e32 v[8:9], v8
	v_mul_f64 v[0:1], v[0:1], s[0:1]
	v_accvgpr_read_b32 v10, a6
	v_mul_f64 v[8:9], v[8:9], s[0:1]
	v_cvt_f32_f64_e32 v13, v[0:1]
	v_mad_u64_u32 v[0:1], s[2:3], s12, v10, 0
	v_cvt_f32_f64_e32 v12, v[8:9]
	v_mov_b32_e32 v8, v1
	v_add_u32_e32 v1, 0x1e00, v92
	v_mad_u64_u32 v[14:15], s[2:3], s13, v10, v[8:9]
	ds_read2_b64 v[8:11], v1 offset0:41 offset1:223
	v_lshl_add_u64 v[4:5], v[6:7], 3, v[4:5]
	v_accvgpr_read_b32 v6, a22
	v_mov_b32_e32 v1, v14
	v_accvgpr_read_b32 v7, a23
	v_lshl_add_u64 v[0:1], v[0:1], 3, v[4:5]
	s_waitcnt lgkmcnt(0)
	v_mul_f32_e32 v4, v7, v9
	v_fmac_f32_e32 v4, v6, v8
	v_cvt_f64_f32_e32 v[4:5], v4
	v_mul_f64 v[4:5], v[4:5], s[0:1]
	v_cvt_f32_f64_e32 v4, v[4:5]
	v_mul_f32_e32 v5, v7, v8
	v_fma_f32 v5, v6, v9, -v5
	v_cvt_f64_f32_e32 v[6:7], v5
	s_mul_i32 s2, s13, 0x3e9
	s_mul_hi_u32 s3, s12, 0x3e9
	v_mul_f64 v[6:7], v[6:7], s[0:1]
	s_add_i32 s3, s3, s2
	s_mul_i32 s2, s12, 0x3e9
	v_cvt_f32_f64_e32 v5, v[6:7]
	s_lshl_b64 s[6:7], s[2:3], 3
	v_accvgpr_read_b32 v6, a20
	global_store_dwordx2 v[0:1], v[12:13], off
	v_lshl_add_u64 v[0:1], v[0:1], 0, s[6:7]
	v_accvgpr_read_b32 v7, a21
	global_store_dwordx2 v[0:1], v[4:5], off
	v_mul_f32_e32 v4, v7, v3
	v_fmac_f32_e32 v4, v6, v2
	v_mul_f32_e32 v2, v7, v2
	v_fma_f32 v2, v6, v3, -v2
	v_cvt_f64_f32_e32 v[4:5], v4
	v_cvt_f64_f32_e32 v[2:3], v2
	s_mul_hi_u32 s5, s12, 0xfffffccd
	v_mul_f64 v[4:5], v[4:5], s[0:1]
	v_mul_f64 v[2:3], v[2:3], s[0:1]
	s_mul_i32 s4, s13, 0xfffffccd
	s_sub_i32 s5, s5, s12
	v_cvt_f32_f64_e32 v4, v[4:5]
	v_cvt_f32_f64_e32 v5, v[2:3]
	s_add_i32 s5, s5, s4
	s_mul_i32 s4, s12, 0xfffffccd
	v_accvgpr_read_b32 v2, a18
	s_lshl_b64 s[10:11], s[4:5], 3
	v_accvgpr_read_b32 v3, a19
	v_lshl_add_u64 v[6:7], v[0:1], 0, s[10:11]
	v_mul_f32_e32 v0, v3, v11
	v_fmac_f32_e32 v0, v2, v10
	v_cvt_f64_f32_e32 v[0:1], v0
	v_mul_f64 v[0:1], v[0:1], s[0:1]
	global_store_dwordx2 v[6:7], v[4:5], off
	v_cvt_f32_f64_e32 v4, v[0:1]
	v_mul_f32_e32 v0, v3, v10
	v_fma_f32 v0, v2, v11, -v0
	v_cvt_f64_f32_e32 v[8:9], v0
	ds_read2_b64 v[0:3], v93 offset0:44 offset1:226
	v_mul_f64 v[8:9], v[8:9], s[0:1]
	v_cvt_f32_f64_e32 v5, v[8:9]
	v_lshl_add_u64 v[8:9], v[6:7], 0, s[6:7]
	v_accvgpr_read_b32 v6, a16
	v_accvgpr_read_b32 v7, a17
	global_store_dwordx2 v[8:9], v[4:5], off
	s_waitcnt lgkmcnt(0)
	v_mul_f32_e32 v4, v7, v1
	v_fmac_f32_e32 v4, v6, v0
	v_cvt_f64_f32_e32 v[4:5], v4
	v_mul_f64 v[4:5], v[4:5], s[0:1]
	v_mul_f32_e32 v0, v7, v0
	v_cvt_f32_f64_e32 v10, v[4:5]
	v_fma_f32 v0, v6, v1, -v0
	v_add_u32_e32 v4, 0x2a00, v92
	v_cvt_f64_f32_e32 v[0:1], v0
	ds_read2_b64 v[4:7], v4 offset0:21 offset1:203
	v_mul_f64 v[0:1], v[0:1], s[0:1]
	v_cvt_f32_f64_e32 v11, v[0:1]
	v_lshl_add_u64 v[0:1], v[8:9], 0, s[10:11]
	global_store_dwordx2 v[0:1], v[10:11], off
	v_accvgpr_read_b32 v10, a10
	v_accvgpr_read_b32 v11, a11
	s_waitcnt lgkmcnt(0)
	v_mul_f32_e32 v8, v11, v5
	v_fmac_f32_e32 v8, v10, v4
	v_mul_f32_e32 v4, v11, v4
	v_fma_f32 v4, v10, v5, -v4
	v_cvt_f64_f32_e32 v[8:9], v8
	v_cvt_f64_f32_e32 v[4:5], v4
	v_mul_f64 v[8:9], v[8:9], s[0:1]
	v_mul_f64 v[4:5], v[4:5], s[0:1]
	v_cvt_f32_f64_e32 v8, v[8:9]
	v_cvt_f32_f64_e32 v9, v[4:5]
	v_lshl_add_u64 v[0:1], v[0:1], 0, s[6:7]
	global_store_dwordx2 v[0:1], v[8:9], off
	v_accvgpr_read_b32 v8, a8
	v_accvgpr_read_b32 v9, a9
	v_mul_f32_e32 v4, v9, v3
	v_fmac_f32_e32 v4, v8, v2
	v_mul_f32_e32 v2, v9, v2
	v_fma_f32 v2, v8, v3, -v2
	v_cvt_f64_f32_e32 v[4:5], v4
	v_cvt_f64_f32_e32 v[2:3], v2
	v_mul_f64 v[4:5], v[4:5], s[0:1]
	v_mul_f64 v[2:3], v[2:3], s[0:1]
	v_cvt_f32_f64_e32 v4, v[4:5]
	v_cvt_f32_f64_e32 v5, v[2:3]
	v_lshl_add_u64 v[0:1], v[0:1], 0, s[10:11]
	global_store_dwordx2 v[0:1], v[4:5], off
	v_accvgpr_read_b32 v4, a12
	v_accvgpr_read_b32 v5, a13
	v_mul_f32_e32 v2, v5, v7
	v_fmac_f32_e32 v2, v4, v6
	v_cvt_f64_f32_e32 v[2:3], v2
	v_mul_f64 v[2:3], v[2:3], s[0:1]
	v_cvt_f32_f64_e32 v2, v[2:3]
	v_mul_f32_e32 v3, v5, v6
	v_fma_f32 v3, v4, v7, -v3
	ds_read_b64 v[6:7], v92 offset:5824
	v_cvt_f64_f32_e32 v[4:5], v3
	v_mul_f64 v[4:5], v[4:5], s[0:1]
	v_cvt_f32_f64_e32 v3, v[4:5]
	v_lshl_add_u64 v[0:1], v[0:1], 0, s[6:7]
	v_accvgpr_read_b32 v9, a5
	global_store_dwordx2 v[0:1], v[2:3], off
	ds_read_b64 v[2:3], v92 offset:13832
	v_accvgpr_read_b32 v8, a4
	s_waitcnt lgkmcnt(1)
	v_mul_f32_e32 v4, v9, v7
	v_fmac_f32_e32 v4, v8, v6
	v_cvt_f64_f32_e32 v[4:5], v4
	v_mul_f64 v[4:5], v[4:5], s[0:1]
	v_cvt_f32_f64_e32 v4, v[4:5]
	v_mul_f32_e32 v5, v9, v6
	v_fma_f32 v5, v8, v7, -v5
	v_cvt_f64_f32_e32 v[6:7], v5
	v_mul_f64 v[6:7], v[6:7], s[0:1]
	v_cvt_f32_f64_e32 v5, v[6:7]
	v_lshl_add_u64 v[0:1], v[0:1], 0, s[10:11]
	v_accvgpr_read_b32 v7, a3
	global_store_dwordx2 v[0:1], v[4:5], off
	v_accvgpr_read_b32 v6, a2
	s_waitcnt lgkmcnt(0)
	v_mul_f32_e32 v4, v7, v3
	v_fmac_f32_e32 v4, v6, v2
	v_mul_f32_e32 v2, v7, v2
	v_fma_f32 v2, v6, v3, -v2
	v_cvt_f64_f32_e32 v[4:5], v4
	v_cvt_f64_f32_e32 v[2:3], v2
	v_mul_f64 v[4:5], v[4:5], s[0:1]
	v_mul_f64 v[2:3], v[2:3], s[0:1]
	v_cvt_f32_f64_e32 v4, v[4:5]
	v_cvt_f32_f64_e32 v5, v[2:3]
	v_lshl_add_u64 v[0:1], v[0:1], 0, s[6:7]
	global_store_dwordx2 v[0:1], v[4:5], off
	s_and_b64 exec, exec, s[8:9]
	s_cbranch_execz .LBB0_33
; %bb.32:
	v_accvgpr_read_b32 v5, a1
	v_accvgpr_read_b32 v4, a0
	v_add_co_u32_e32 v2, vcc, 0x1000, v4
	s_movk_i32 s6, 0x3000
	s_nop 0
	v_addc_co_u32_e32 v3, vcc, 0, v5, vcc
	v_add_co_u32_e32 v4, vcc, s6, v4
	global_load_dwordx2 v[2:3], v[2:3], off offset:3184
	s_nop 0
	v_addc_co_u32_e32 v5, vcc, 0, v5, vcc
	global_load_dwordx2 v[4:5], v[4:5], off offset:3000
	ds_read_b64 v[6:7], v92 offset:7280
	ds_read_b64 v[8:9], v92 offset:15288
	v_lshl_add_u64 v[0:1], s[4:5], 3, v[0:1]
	v_lshl_add_u64 v[10:11], s[2:3], 3, v[0:1]
	s_waitcnt vmcnt(1) lgkmcnt(1)
	v_mul_f32_e32 v12, v7, v3
	v_mul_f32_e32 v3, v6, v3
	v_fmac_f32_e32 v12, v6, v2
	s_waitcnt vmcnt(0) lgkmcnt(0)
	v_mul_f32_e32 v13, v9, v5
	v_mul_f32_e32 v5, v8, v5
	v_fma_f32 v6, v2, v7, -v3
	v_fmac_f32_e32 v13, v8, v4
	v_fma_f32 v8, v4, v9, -v5
	v_cvt_f64_f32_e32 v[2:3], v12
	v_cvt_f64_f32_e32 v[4:5], v6
	;; [unrolled: 1-line block ×4, first 2 shown]
	v_mul_f64 v[2:3], v[2:3], s[0:1]
	v_mul_f64 v[4:5], v[4:5], s[0:1]
	;; [unrolled: 1-line block ×4, first 2 shown]
	v_cvt_f32_f64_e32 v2, v[2:3]
	v_cvt_f32_f64_e32 v3, v[4:5]
	;; [unrolled: 1-line block ×4, first 2 shown]
	global_store_dwordx2 v[0:1], v[2:3], off
	global_store_dwordx2 v[10:11], v[4:5], off
.LBB0_33:
	s_endpgm
	.section	.rodata,"a",@progbits
	.p2align	6, 0x0
	.amdhsa_kernel bluestein_single_fwd_len2002_dim1_sp_op_CI_CI
		.amdhsa_group_segment_fixed_size 16016
		.amdhsa_private_segment_fixed_size 0
		.amdhsa_kernarg_size 104
		.amdhsa_user_sgpr_count 2
		.amdhsa_user_sgpr_dispatch_ptr 0
		.amdhsa_user_sgpr_queue_ptr 0
		.amdhsa_user_sgpr_kernarg_segment_ptr 1
		.amdhsa_user_sgpr_dispatch_id 0
		.amdhsa_user_sgpr_kernarg_preload_length 0
		.amdhsa_user_sgpr_kernarg_preload_offset 0
		.amdhsa_user_sgpr_private_segment_size 0
		.amdhsa_uses_dynamic_stack 0
		.amdhsa_enable_private_segment 0
		.amdhsa_system_sgpr_workgroup_id_x 1
		.amdhsa_system_sgpr_workgroup_id_y 0
		.amdhsa_system_sgpr_workgroup_id_z 0
		.amdhsa_system_sgpr_workgroup_info 0
		.amdhsa_system_vgpr_workitem_id 0
		.amdhsa_next_free_vgpr 316
		.amdhsa_next_free_sgpr 58
		.amdhsa_accum_offset 256
		.amdhsa_reserve_vcc 1
		.amdhsa_float_round_mode_32 0
		.amdhsa_float_round_mode_16_64 0
		.amdhsa_float_denorm_mode_32 3
		.amdhsa_float_denorm_mode_16_64 3
		.amdhsa_dx10_clamp 1
		.amdhsa_ieee_mode 1
		.amdhsa_fp16_overflow 0
		.amdhsa_tg_split 0
		.amdhsa_exception_fp_ieee_invalid_op 0
		.amdhsa_exception_fp_denorm_src 0
		.amdhsa_exception_fp_ieee_div_zero 0
		.amdhsa_exception_fp_ieee_overflow 0
		.amdhsa_exception_fp_ieee_underflow 0
		.amdhsa_exception_fp_ieee_inexact 0
		.amdhsa_exception_int_div_zero 0
	.end_amdhsa_kernel
	.text
.Lfunc_end0:
	.size	bluestein_single_fwd_len2002_dim1_sp_op_CI_CI, .Lfunc_end0-bluestein_single_fwd_len2002_dim1_sp_op_CI_CI
                                        ; -- End function
	.section	.AMDGPU.csdata,"",@progbits
; Kernel info:
; codeLenInByte = 18788
; NumSgprs: 64
; NumVgprs: 256
; NumAgprs: 60
; TotalNumVgprs: 316
; ScratchSize: 0
; MemoryBound: 0
; FloatMode: 240
; IeeeMode: 1
; LDSByteSize: 16016 bytes/workgroup (compile time only)
; SGPRBlocks: 7
; VGPRBlocks: 39
; NumSGPRsForWavesPerEU: 64
; NumVGPRsForWavesPerEU: 316
; AccumOffset: 256
; Occupancy: 1
; WaveLimiterHint : 1
; COMPUTE_PGM_RSRC2:SCRATCH_EN: 0
; COMPUTE_PGM_RSRC2:USER_SGPR: 2
; COMPUTE_PGM_RSRC2:TRAP_HANDLER: 0
; COMPUTE_PGM_RSRC2:TGID_X_EN: 1
; COMPUTE_PGM_RSRC2:TGID_Y_EN: 0
; COMPUTE_PGM_RSRC2:TGID_Z_EN: 0
; COMPUTE_PGM_RSRC2:TIDIG_COMP_CNT: 0
; COMPUTE_PGM_RSRC3_GFX90A:ACCUM_OFFSET: 63
; COMPUTE_PGM_RSRC3_GFX90A:TG_SPLIT: 0
	.text
	.p2alignl 6, 3212836864
	.fill 256, 4, 3212836864
	.type	__hip_cuid_464f08c0092608e3,@object ; @__hip_cuid_464f08c0092608e3
	.section	.bss,"aw",@nobits
	.globl	__hip_cuid_464f08c0092608e3
__hip_cuid_464f08c0092608e3:
	.byte	0                               ; 0x0
	.size	__hip_cuid_464f08c0092608e3, 1

	.ident	"AMD clang version 19.0.0git (https://github.com/RadeonOpenCompute/llvm-project roc-6.4.0 25133 c7fe45cf4b819c5991fe208aaa96edf142730f1d)"
	.section	".note.GNU-stack","",@progbits
	.addrsig
	.addrsig_sym __hip_cuid_464f08c0092608e3
	.amdgpu_metadata
---
amdhsa.kernels:
  - .agpr_count:     60
    .args:
      - .actual_access:  read_only
        .address_space:  global
        .offset:         0
        .size:           8
        .value_kind:     global_buffer
      - .actual_access:  read_only
        .address_space:  global
        .offset:         8
        .size:           8
        .value_kind:     global_buffer
      - .actual_access:  read_only
        .address_space:  global
        .offset:         16
        .size:           8
        .value_kind:     global_buffer
      - .actual_access:  read_only
        .address_space:  global
        .offset:         24
        .size:           8
        .value_kind:     global_buffer
      - .actual_access:  read_only
        .address_space:  global
        .offset:         32
        .size:           8
        .value_kind:     global_buffer
      - .offset:         40
        .size:           8
        .value_kind:     by_value
      - .address_space:  global
        .offset:         48
        .size:           8
        .value_kind:     global_buffer
      - .address_space:  global
        .offset:         56
        .size:           8
        .value_kind:     global_buffer
      - .address_space:  global
        .offset:         64
        .size:           8
        .value_kind:     global_buffer
      - .address_space:  global
        .offset:         72
        .size:           8
        .value_kind:     global_buffer
      - .offset:         80
        .size:           4
        .value_kind:     by_value
      - .address_space:  global
        .offset:         88
        .size:           8
        .value_kind:     global_buffer
      - .address_space:  global
        .offset:         96
        .size:           8
        .value_kind:     global_buffer
    .group_segment_fixed_size: 16016
    .kernarg_segment_align: 8
    .kernarg_segment_size: 104
    .language:       OpenCL C
    .language_version:
      - 2
      - 0
    .max_flat_workgroup_size: 182
    .name:           bluestein_single_fwd_len2002_dim1_sp_op_CI_CI
    .private_segment_fixed_size: 0
    .sgpr_count:     64
    .sgpr_spill_count: 0
    .symbol:         bluestein_single_fwd_len2002_dim1_sp_op_CI_CI.kd
    .uniform_work_group_size: 1
    .uses_dynamic_stack: false
    .vgpr_count:     316
    .vgpr_spill_count: 0
    .wavefront_size: 64
amdhsa.target:   amdgcn-amd-amdhsa--gfx950
amdhsa.version:
  - 1
  - 2
...

	.end_amdgpu_metadata
